;; amdgpu-corpus repo=pytorch/pytorch kind=compiled arch=gfx1250 opt=O3
	.amdgcn_target "amdgcn-amd-amdhsa--gfx1250"
	.amdhsa_code_object_version 6
	.section	.text._ZN2at6native12_GLOBAL__N_137upsample_bicubic2d_out_frame_parallelIddEEviT0_S3_bN5torch10headeronly6detail27GenericPackedTensorAccessorINS6_14TensorAccessorIN3c108ArrayRefIlEEKT_Lm3ENS5_16DefaultPtrTraitsElEENS_6detail16IndexBoundsCheckILm4ElEESD_Lm4ESE_lEENS7_INS8_ISB_SC_Lm3ESE_lEESI_SC_Lm4ESE_lEE,"axG",@progbits,_ZN2at6native12_GLOBAL__N_137upsample_bicubic2d_out_frame_parallelIddEEviT0_S3_bN5torch10headeronly6detail27GenericPackedTensorAccessorINS6_14TensorAccessorIN3c108ArrayRefIlEEKT_Lm3ENS5_16DefaultPtrTraitsElEENS_6detail16IndexBoundsCheckILm4ElEESD_Lm4ESE_lEENS7_INS8_ISB_SC_Lm3ESE_lEESI_SC_Lm4ESE_lEE,comdat
	.globl	_ZN2at6native12_GLOBAL__N_137upsample_bicubic2d_out_frame_parallelIddEEviT0_S3_bN5torch10headeronly6detail27GenericPackedTensorAccessorINS6_14TensorAccessorIN3c108ArrayRefIlEEKT_Lm3ENS5_16DefaultPtrTraitsElEENS_6detail16IndexBoundsCheckILm4ElEESD_Lm4ESE_lEENS7_INS8_ISB_SC_Lm3ESE_lEESI_SC_Lm4ESE_lEE ; -- Begin function _ZN2at6native12_GLOBAL__N_137upsample_bicubic2d_out_frame_parallelIddEEviT0_S3_bN5torch10headeronly6detail27GenericPackedTensorAccessorINS6_14TensorAccessorIN3c108ArrayRefIlEEKT_Lm3ENS5_16DefaultPtrTraitsElEENS_6detail16IndexBoundsCheckILm4ElEESD_Lm4ESE_lEENS7_INS8_ISB_SC_Lm3ESE_lEESI_SC_Lm4ESE_lEE
	.p2align	8
	.type	_ZN2at6native12_GLOBAL__N_137upsample_bicubic2d_out_frame_parallelIddEEviT0_S3_bN5torch10headeronly6detail27GenericPackedTensorAccessorINS6_14TensorAccessorIN3c108ArrayRefIlEEKT_Lm3ENS5_16DefaultPtrTraitsElEENS_6detail16IndexBoundsCheckILm4ElEESD_Lm4ESE_lEENS7_INS8_ISB_SC_Lm3ESE_lEESI_SC_Lm4ESE_lEE,@function
_ZN2at6native12_GLOBAL__N_137upsample_bicubic2d_out_frame_parallelIddEEviT0_S3_bN5torch10headeronly6detail27GenericPackedTensorAccessorINS6_14TensorAccessorIN3c108ArrayRefIlEEKT_Lm3ENS5_16DefaultPtrTraitsElEENS_6detail16IndexBoundsCheckILm4ElEESD_Lm4ESE_lEENS7_INS8_ISB_SC_Lm3ESE_lEESI_SC_Lm4ESE_lEE: ; @_ZN2at6native12_GLOBAL__N_137upsample_bicubic2d_out_frame_parallelIddEEviT0_S3_bN5torch10headeronly6detail27GenericPackedTensorAccessorINS6_14TensorAccessorIN3c108ArrayRefIlEEKT_Lm3ENS5_16DefaultPtrTraitsElEENS_6detail16IndexBoundsCheckILm4ElEESD_Lm4ESE_lEENS7_INS8_ISB_SC_Lm3ESE_lEESI_SC_Lm4ESE_lEE
; %bb.0:
	s_clause 0x1
	s_load_b32 s2, s[0:1], 0xbc
	s_load_b32 s3, s[0:1], 0x0
	s_bfe_u32 s4, ttmp6, 0x4000c
	s_and_b32 s5, ttmp6, 15
	s_add_co_i32 s4, s4, 1
	s_getreg_b32 s28, hwreg(HW_REG_IB_STS2, 6, 4)
	s_mul_i32 s4, ttmp9, s4
	s_delay_alu instid0(SALU_CYCLE_1) | instskip(SKIP_4) | instid1(SALU_CYCLE_1)
	s_add_co_i32 s5, s5, s4
	s_wait_kmcnt 0x0
	s_and_b32 s2, s2, 0xffff
	s_cmp_eq_u32 s28, 0
	s_cselect_b32 s4, ttmp9, s5
	v_mad_u32 v1, s4, s2, v0
	s_mov_b32 s2, exec_lo
	s_delay_alu instid0(VALU_DEP_1)
	v_cmpx_gt_i32_e64 s3, v1
	s_cbranch_execz .LBB0_17
; %bb.1:
	s_load_b128 s[12:15], s[0:1], 0x80
	s_mov_b32 s29, -1
	s_wait_kmcnt 0x0
	s_abs_i32 s2, s14
	s_delay_alu instid0(SALU_CYCLE_1) | instskip(SKIP_1) | instid1(SALU_CYCLE_2)
	s_cvt_f32_u32 s3, s2
	s_sub_co_i32 s4, 0, s2
	v_rcp_iflag_f32_e32 v0, s3
	v_nop
	s_delay_alu instid0(TRANS32_DEP_1) | instskip(SKIP_2) | instid1(VALU_DEP_1)
	v_readfirstlane_b32 s3, v0
	v_sub_nc_u32_e32 v0, 0, v1
	s_mul_f32 s3, s3, 0x4f7ffffe
	v_max_i32_e32 v0, v1, v0
	s_delay_alu instid0(SALU_CYCLE_2) | instskip(NEXT) | instid1(SALU_CYCLE_3)
	s_cvt_u32_f32 s3, s3
	s_mul_i32 s4, s4, s3
	s_delay_alu instid0(SALU_CYCLE_1) | instskip(NEXT) | instid1(SALU_CYCLE_1)
	s_mul_hi_u32 s4, s3, s4
	s_add_co_i32 s3, s3, s4
	s_load_b256 s[4:11], s[0:1], 0x28
	v_mul_hi_u32 v2, v0, s3
	s_delay_alu instid0(VALU_DEP_1) | instskip(SKIP_3) | instid1(VALU_DEP_1)
	v_mul_lo_u32 v3, v2, s2
	s_wait_kmcnt 0x0
	s_cmp_lg_u32 s8, s12
	s_cselect_b32 s5, -1, 0
	v_dual_sub_nc_u32 v0, v0, v3 :: v_dual_add_nc_u32 v3, 1, v2
	s_cmp_lg_u32 s10, s14
	s_cselect_b32 s7, -1, 0
	s_delay_alu instid0(VALU_DEP_1) | instskip(SKIP_4) | instid1(VALU_DEP_1)
	v_cmp_le_u32_e32 vcc_lo, s2, v0
	s_or_b32 s5, s7, s5
	s_mul_i32 s7, s6, s4
	v_dual_cndmask_b32 v2, v2, v3, vcc_lo :: v_dual_bitop2_b32 v3, s14, v1 bitop3:0x14
	v_subrev_nc_u32_e32 v4, s2, v0
	v_dual_cndmask_b32 v0, v0, v4, vcc_lo :: v_dual_add_nc_u32 v4, 1, v2
	s_delay_alu instid0(VALU_DEP_1) | instskip(NEXT) | instid1(VALU_DEP_4)
	v_cmp_le_u32_e32 vcc_lo, s2, v0
	v_ashrrev_i32_e32 v3, 31, v3
	s_add_nc_u64 s[2:3], s[0:1], 0xb0
	s_delay_alu instid0(VALU_DEP_3) | instskip(SKIP_1) | instid1(VALU_DEP_1)
	v_cndmask_b32_e32 v0, v2, v4, vcc_lo
	s_and_b32 vcc_lo, exec_lo, s5
	v_xor_b32_e32 v0, v0, v3
	s_delay_alu instid0(VALU_DEP_1) | instskip(NEXT) | instid1(VALU_DEP_1)
	v_sub_nc_u32_e32 v0, v0, v3
	v_mul_lo_u32 v2, v0, s14
	s_delay_alu instid0(VALU_DEP_1)
	v_sub_nc_u32_e32 v2, v1, v2
	s_cbranch_vccz .LBB0_13
; %bb.2:
	s_delay_alu instid0(VALU_DEP_1)
	v_cvt_f64_i32_e32 v[6:7], v2
	s_clause 0x1
	s_load_b32 s4, s[0:1], 0x18
	s_load_b128 s[12:15], s[0:1], 0x8
	s_mov_b32 s5, -1
                                        ; implicit-def: $vgpr4_vgpr5
	s_wait_kmcnt 0x0
	s_bitcmp1_b32 s4, 0
	s_cselect_b32 s4, -1, 0
	s_delay_alu instid0(SALU_CYCLE_1) | instskip(NEXT) | instid1(SALU_CYCLE_1)
	s_xor_b32 s4, s4, -1
	s_and_b32 vcc_lo, exec_lo, s4
	s_cbranch_vccnz .LBB0_6
; %bb.3:
	s_and_not1_b32 vcc_lo, exec_lo, s5
	s_cbranch_vccz .LBB0_7
.LBB0_4:
	v_cvt_f64_i32_e32 v[8:9], v0
	s_and_b32 vcc_lo, exec_lo, s4
	s_cbranch_vccz .LBB0_8
.LBB0_5:
	s_delay_alu instid0(VALU_DEP_1) | instskip(NEXT) | instid1(VALU_DEP_1)
	v_add_f64_e32 v[6:7], 0.5, v[8:9]
	v_fma_f64 v[6:7], s[12:13], v[6:7], -0.5
	s_cbranch_execz .LBB0_9
	s_branch .LBB0_10
.LBB0_6:
	s_delay_alu instid0(VALU_DEP_1) | instskip(NEXT) | instid1(VALU_DEP_1)
	v_add_f64_e32 v[4:5], 0.5, v[6:7]
	v_fma_f64 v[4:5], s[14:15], v[4:5], -0.5
	s_cbranch_execnz .LBB0_4
.LBB0_7:
	s_delay_alu instid0(VALU_DEP_1)
	v_mul_f64_e32 v[4:5], s[14:15], v[6:7]
	v_cvt_f64_i32_e32 v[8:9], v0
	s_and_b32 vcc_lo, exec_lo, s4
	s_cbranch_vccnz .LBB0_5
.LBB0_8:
                                        ; implicit-def: $vgpr6_vgpr7
.LBB0_9:
	s_delay_alu instid0(VALU_DEP_1)
	v_mul_f64_e32 v[6:7], s[12:13], v[8:9]
.LBB0_10:
	s_bfe_u32 s4, ttmp6, 0x40014
	s_lshr_b32 s5, ttmp7, 16
	s_add_co_i32 s4, s4, 1
	s_bfe_u32 s9, ttmp6, 0x40008
	s_mul_i32 s4, s5, s4
	s_mov_b32 s29, 0
	s_add_co_i32 s9, s9, s4
	s_cmp_eq_u32 s28, 0
	s_cselect_b32 s30, s5, s9
	s_delay_alu instid0(SALU_CYCLE_1)
	s_cmp_ge_i32 s30, s7
	s_cbranch_scc1 .LBB0_13
; %bb.11:
	s_delay_alu instid0(VALU_DEP_3) | instskip(NEXT) | instid1(VALU_DEP_2)
	v_cvt_f32_f64_e32 v1, v[4:5]
	v_cvt_f32_f64_e32 v3, v[6:7]
	s_load_b256 s[12:19], s[0:1], 0x48
	s_mov_b64 s[4:5], 0x3ff4000000000000
	s_mov_b64 s[20:21], 0xbfe8000000000000
	s_abs_i32 s31, s6
	s_mov_b32 s11, 0
	s_sub_co_i32 s33, 0, s6
	v_mov_b32_e32 v37, 0
	s_delay_alu instid0(VALU_DEP_3) | instskip(NEXT) | instid1(VALU_DEP_3)
	v_floor_f32_e32 v1, v1
	v_floor_f32_e32 v3, v3
	s_delay_alu instid0(VALU_DEP_2) | instskip(NEXT) | instid1(VALU_DEP_2)
	v_cvt_i32_f32_e32 v1, v1
	v_cvt_i32_f32_e32 v56, v3
	s_delay_alu instid0(VALU_DEP_2) | instskip(NEXT) | instid1(VALU_DEP_2)
	v_cvt_f64_i32_e32 v[8:9], v1
	v_cvt_f64_i32_e32 v[10:11], v56
	v_add_nc_u32_e32 v3, -1, v1
	s_delay_alu instid0(VALU_DEP_3) | instskip(NEXT) | instid1(VALU_DEP_3)
	v_add_f64_e64 v[14:15], v[4:5], -v[8:9]
	v_add_f64_e64 v[16:17], v[6:7], -v[10:11]
	s_delay_alu instid0(VALU_DEP_2) | instskip(NEXT) | instid1(VALU_DEP_2)
	v_add_f64_e64 v[20:21], -v[14:15], 1.0
	v_add_f64_e64 v[24:25], -v[16:17], 1.0
	v_add_f64_e32 v[18:19], 1.0, v[14:15]
	v_add_f64_e32 v[22:23], 1.0, v[16:17]
	v_fmaak_f64 v[4:5], s[4:5], v[14:15], 0xc0020000
	v_fmaak_f64 v[6:7], s[4:5], v[16:17], 0xc0020000
	s_delay_alu instid0(VALU_DEP_2) | instskip(NEXT) | instid1(VALU_DEP_2)
	v_mul_f64_e32 v[44:45], v[14:15], v[4:5]
	v_mul_f64_e32 v[46:47], v[16:17], v[6:7]
	v_add_f64_e32 v[26:27], 1.0, v[20:21]
	v_add_f64_e32 v[28:29], 1.0, v[24:25]
	v_fmaak_f64 v[10:11], s[4:5], v[20:21], 0xc0020000
	v_fmaak_f64 v[30:31], s[4:5], v[24:25], 0xc0020000
	s_add_co_i32 s4, s10, -1
	s_cvt_f32_u32 s5, s31
	v_minmax_i32 v36, v3, s4, 0
	v_add_nc_u32_e32 v3, 1, v1
	v_fmaak_f64 v[8:9], s[20:21], v[18:19], 0x400e0000
	v_mul_f64_e32 v[50:51], v[20:21], v[10:11]
	v_mul_f64_e32 v[30:31], v[24:25], v[30:31]
	s_wait_kmcnt 0x0
	v_mul_u64_e32 v[38:39], s[18:19], v[36:37]
	v_minmax_i32 v36, v1, s4, 0
	v_add_nc_u32_e32 v1, 2, v1
	v_fma_f64 v[14:15], v[14:15], v[44:45], 1.0
	v_fmaak_f64 v[48:49], v[18:19], v[8:9], 0xc0180000
	v_add_nc_u32_e32 v8, 1, v56
	v_mul_u64_e32 v[40:41], s[18:19], v[36:37]
	v_minmax_i32 v36, v3, s4, 0
	v_ashrrev_i32_e32 v3, 31, v2
	v_fmaak_f64 v[12:13], s[20:21], v[22:23], 0x400e0000
	v_fma_f64 v[16:17], v[16:17], v[46:47], 1.0
	v_fmaak_f64 v[18:19], v[18:19], v[48:49], 0x40080000
	v_mul_u64_e32 v[42:43], s[18:19], v[36:37]
	v_minmax_i32 v36, v1, s4, 0
	v_add_nc_u32_e32 v1, -1, v56
	s_add_co_i32 s4, s8, -1
	v_fmaak_f64 v[52:53], v[22:23], v[12:13], 0xc0180000
	s_delay_alu instid0(VALU_DEP_3) | instskip(NEXT) | instid1(VALU_DEP_3)
	v_mul_u64_e32 v[54:55], s[18:19], v[36:37]
	v_minmax_i32 v36, v1, s4, 0
	v_ashrrev_i32_e32 v1, 31, v0
	v_fmaak_f64 v[32:33], s[20:21], v[26:27], 0x400e0000
	v_fmaak_f64 v[34:35], s[20:21], v[28:29], 0x400e0000
	s_load_b256 s[20:27], s[0:1], 0x90
	v_mul_u64_e32 v[4:5], s[16:17], v[36:37]
	v_minmax_i32 v36, v56, s4, 0
	v_add_nc_u32_e32 v56, 2, v56
	v_fmaak_f64 v[22:23], v[22:23], v[52:53], 0x40080000
	v_fmaak_f64 v[32:33], v[26:27], v[32:33], 0xc0180000
	;; [unrolled: 1-line block ×3, first 2 shown]
	v_mul_u64_e32 v[6:7], s[16:17], v[36:37]
	v_minmax_i32 v36, v8, s4, 0
	v_fma_f64 v[20:21], v[20:21], v[50:51], 1.0
	v_fma_f64 v[24:25], v[24:25], v[30:31], 1.0
	v_fmaak_f64 v[26:27], v[26:27], v[32:33], 0x40080000
	s_delay_alu instid0(VALU_DEP_4) | instskip(SKIP_4) | instid1(VALU_DEP_4)
	v_mul_u64_e32 v[12:13], s[16:17], v[36:37]
	v_minmax_i32 v36, v56, s4, 0
	v_fmaak_f64 v[28:29], v[28:29], v[34:35], 0x40080000
	v_lshlrev_b64_e32 v[32:33], 3, v[38:39]
	v_lshlrev_b64_e32 v[34:35], 3, v[40:41]
	v_mul_u64_e32 v[30:31], s[16:17], v[36:37]
	s_wait_kmcnt 0x0
	v_mul_u64_e32 v[8:9], s[24:25], v[0:1]
	v_mul_u64_e32 v[10:11], s[26:27], v[2:3]
	v_rcp_iflag_f32_e32 v1, s5
	s_clause 0x1
	s_load_b64 s[4:5], s[0:1], 0x20
	s_load_b64 s[8:9], s[0:1], 0x68
	s_load_b32 s26, s[2:3], 0x8
	s_sub_co_i32 s16, 0, s31
	v_lshlrev_b64_e32 v[36:37], 3, v[42:43]
	s_ashr_i32 s27, s6, 31
	v_lshlrev_b64_e32 v[38:39], 3, v[54:55]
	s_mov_b32 s17, s11
	v_readfirstlane_b32 s10, v1
	s_mul_f32 s10, s10, 0x4f7ffffe
	s_delay_alu instid0(SALU_CYCLE_3) | instskip(NEXT) | instid1(SALU_CYCLE_3)
	s_cvt_u32_f32 s10, s10
	s_mul_i32 s16, s16, s10
	s_delay_alu instid0(SALU_CYCLE_1) | instskip(NEXT) | instid1(SALU_CYCLE_1)
	s_mul_hi_u32 s16, s10, s16
	s_add_co_i32 s16, s10, s16
.LBB0_12:                               ; =>This Inner Loop Header: Depth=1
	s_abs_i32 s10, s30
	s_ashr_i32 s24, s30, 31
	s_mul_u64 s[18:19], s[10:11], s[16:17]
	s_xor_b32 s18, s24, s27
	s_mul_i32 s24, s19, s31
	s_add_co_i32 s25, s19, 1
	s_sub_co_i32 s10, s10, s24
	s_delay_alu instid0(SALU_CYCLE_1)
	s_sub_co_i32 s24, s10, s31
	s_cmp_ge_u32 s10, s31
	s_cselect_b32 s19, s25, s19
	s_cselect_b32 s10, s24, s10
	s_add_co_i32 s24, s19, 1
	s_cmp_ge_u32 s10, s31
	s_cselect_b32 s10, s24, s19
	s_delay_alu instid0(SALU_CYCLE_1) | instskip(NEXT) | instid1(SALU_CYCLE_1)
	s_xor_b32 s10, s10, s18
	s_sub_co_i32 s18, s10, s18
	s_delay_alu instid0(SALU_CYCLE_1)
	s_mul_i32 s10, s33, s18
	s_ashr_i32 s19, s18, 31
	s_add_co_i32 s24, s30, s10
	s_mul_u64 s[34:35], s[12:13], s[18:19]
	s_ashr_i32 s25, s24, 31
	s_lshl_b64 s[34:35], s[34:35], 3
	s_mul_u64 s[36:37], s[14:15], s[24:25]
	s_wait_kmcnt 0x0
	s_add_nc_u64 s[34:35], s[4:5], s[34:35]
	s_lshl_b64 s[36:37], s[36:37], 3
	s_mul_u64 s[18:19], s[20:21], s[18:19]
	s_add_nc_u64 s[34:35], s[34:35], s[36:37]
	s_lshl_b64 s[18:19], s[18:19], 3
	s_wait_xcnt 0x0
	v_lshl_add_u64 v[40:41], v[4:5], 3, s[34:35]
	v_lshl_add_u64 v[42:43], v[6:7], 3, s[34:35]
	;; [unrolled: 1-line block ×4, first 2 shown]
	s_mul_u64 s[24:25], s[22:23], s[24:25]
	v_add_nc_u64_e32 v[50:51], v[40:41], v[34:35]
	v_add_nc_u64_e32 v[48:49], v[40:41], v[32:33]
	;; [unrolled: 1-line block ×7, first 2 shown]
	s_clause 0x3
	global_load_b64 v[50:51], v[50:51], off
	global_load_b64 v[48:49], v[48:49], off
	;; [unrolled: 1-line block ×4, first 2 shown]
	v_add_nc_u64_e32 v[58:59], v[42:43], v[36:37]
	v_add_nc_u64_e32 v[60:61], v[44:45], v[32:33]
	;; [unrolled: 1-line block ×3, first 2 shown]
	s_clause 0x3
	global_load_b64 v[56:57], v[56:57], off
	global_load_b64 v[54:55], v[54:55], off
	;; [unrolled: 1-line block ×4, first 2 shown]
	s_add_nc_u64 s[18:19], s[8:9], s[18:19]
	s_lshl_b64 s[24:25], s[24:25], 3
	s_add_co_i32 s30, s30, s26
	s_add_nc_u64 s[18:19], s[18:19], s[24:25]
	s_cmp_lt_i32 s30, s7
	s_wait_loadcnt 0x7
	s_wait_xcnt 0x7
	v_mul_f64_e32 v[50:51], v[14:15], v[50:51]
	s_wait_loadcnt 0x3
	s_wait_xcnt 0x3
	v_mul_f64_e32 v[56:57], v[14:15], v[56:57]
	s_delay_alu instid0(VALU_DEP_2)
	v_fmac_f64_e32 v[50:51], v[18:19], v[48:49]
	v_add_nc_u64_e32 v[48:49], v[44:45], v[36:37]
	v_add_nc_u64_e32 v[44:45], v[44:45], v[38:39]
	s_clause 0x3
	global_load_b64 v[62:63], v[62:63], off
	global_load_b64 v[60:61], v[60:61], off
	;; [unrolled: 1-line block ×4, first 2 shown]
	s_wait_loadcnt 0x6
	v_fmac_f64_e32 v[56:57], v[18:19], v[54:55]
	s_wait_xcnt 0x6
	v_add_nc_u64_e32 v[54:55], v[46:47], v[34:35]
	v_fmac_f64_e32 v[50:51], v[20:21], v[52:53]
	v_add_nc_u64_e32 v[52:53], v[46:47], v[36:37]
	s_wait_loadcnt 0x5
	s_delay_alu instid0(VALU_DEP_4) | instskip(NEXT) | instid1(VALU_DEP_3)
	v_fmac_f64_e32 v[56:57], v[20:21], v[58:59]
	v_fmac_f64_e32 v[50:51], v[26:27], v[40:41]
	s_wait_loadcnt 0x4
	s_delay_alu instid0(VALU_DEP_2) | instskip(SKIP_2) | instid1(VALU_DEP_1)
	v_fmac_f64_e32 v[56:57], v[26:27], v[42:43]
	s_wait_xcnt 0x4
	v_lshl_add_u64 v[42:43], v[8:9], 3, s[18:19]
	v_lshl_add_u64 v[42:43], v[10:11], 3, v[42:43]
	s_delay_alu instid0(VALU_DEP_4) | instskip(NEXT) | instid1(VALU_DEP_1)
	v_mul_f64_e32 v[40:41], v[22:23], v[50:51]
	v_fmac_f64_e32 v[40:41], v[16:17], v[56:57]
	s_wait_loadcnt 0x3
	s_wait_xcnt 0x3
	v_mul_f64_e32 v[62:63], v[14:15], v[62:63]
	s_wait_loadcnt 0x2
	s_delay_alu instid0(VALU_DEP_1)
	v_fmac_f64_e32 v[62:63], v[18:19], v[60:61]
	s_wait_xcnt 0x2
	v_add_nc_u64_e32 v[60:61], v[46:47], v[32:33]
	v_add_nc_u64_e32 v[46:47], v[46:47], v[38:39]
	s_clause 0x3
	global_load_b64 v[54:55], v[54:55], off
	global_load_b64 v[60:61], v[60:61], off
	;; [unrolled: 1-line block ×4, first 2 shown]
	s_wait_loadcnt 0x5
	v_fmac_f64_e32 v[62:63], v[20:21], v[48:49]
	s_wait_loadcnt 0x4
	s_delay_alu instid0(VALU_DEP_1) | instskip(NEXT) | instid1(VALU_DEP_1)
	v_fmac_f64_e32 v[62:63], v[26:27], v[44:45]
	v_fmac_f64_e32 v[40:41], v[24:25], v[62:63]
	s_wait_loadcnt 0x3
	s_wait_xcnt 0x3
	v_mul_f64_e32 v[54:55], v[14:15], v[54:55]
	s_wait_loadcnt 0x2
	s_delay_alu instid0(VALU_DEP_1) | instskip(SKIP_1) | instid1(VALU_DEP_1)
	v_fmac_f64_e32 v[54:55], v[18:19], v[60:61]
	s_wait_loadcnt 0x1
	v_fmac_f64_e32 v[54:55], v[20:21], v[52:53]
	s_wait_loadcnt 0x0
	s_delay_alu instid0(VALU_DEP_1) | instskip(NEXT) | instid1(VALU_DEP_1)
	v_fmac_f64_e32 v[54:55], v[26:27], v[46:47]
	v_fmac_f64_e32 v[40:41], v[28:29], v[54:55]
	global_store_b64 v[42:43], v[40:41], off
	s_cbranch_scc1 .LBB0_12
.LBB0_13:
	s_and_b32 vcc_lo, exec_lo, s29
	s_cbranch_vccz .LBB0_17
; %bb.14:
	s_bfe_u32 s4, ttmp6, 0x40014
	s_lshr_b32 s5, ttmp7, 16
	s_add_co_i32 s4, s4, 1
	s_bfe_u32 s8, ttmp6, 0x40008
	s_mul_i32 s4, s5, s4
	s_delay_alu instid0(SALU_CYCLE_1)
	s_add_co_i32 s8, s8, s4
	s_cmp_eq_u32 s28, 0
	s_cselect_b32 s24, s5, s8
	s_mov_b32 s5, 0
	s_cmp_ge_i32 s24, s7
	s_cbranch_scc1 .LBB0_17
; %bb.15:
	s_clause 0x1
	s_load_b256 s[8:15], s[0:1], 0x48
	s_load_b256 s[16:23], s[0:1], 0x90
	v_dual_ashrrev_i32 v1, 31, v0 :: v_dual_ashrrev_i32 v3, 31, v2
	s_abs_i32 s25, s6
	s_delay_alu instid0(SALU_CYCLE_1) | instskip(NEXT) | instid1(SALU_CYCLE_3)
	s_cvt_f32_u32 s4, s25
	v_rcp_iflag_f32_e32 v8, s4
	s_wait_kmcnt 0x0
	v_mul_u64_e32 v[4:5], s[12:13], v[0:1]
	v_mul_u64_e32 v[6:7], s[14:15], v[2:3]
	v_mul_u64_e32 v[0:1], s[20:21], v[0:1]
	v_mul_u64_e32 v[2:3], s[22:23], v[2:3]
	s_clause 0x1
	s_load_b64 s[12:13], s[0:1], 0x20
	s_load_b64 s[14:15], s[0:1], 0x68
	s_wait_xcnt 0x0
	v_readfirstlane_b32 s0, v8
	s_load_b32 s2, s[2:3], 0x8
	s_sub_co_i32 s1, 0, s25
	s_wait_xcnt 0x0
	s_ashr_i32 s3, s6, 31
	s_sub_co_i32 s6, 0, s6
	s_mul_f32 s0, s0, 0x4f7ffffe
	s_delay_alu instid0(SALU_CYCLE_3) | instskip(NEXT) | instid1(SALU_CYCLE_3)
	s_cvt_u32_f32 s0, s0
	s_mul_i32 s1, s1, s0
	s_delay_alu instid0(SALU_CYCLE_1) | instskip(NEXT) | instid1(SALU_CYCLE_1)
	s_mul_hi_u32 s1, s0, s1
	s_add_co_i32 s0, s0, s1
	s_mov_b32 s1, s5
.LBB0_16:                               ; =>This Inner Loop Header: Depth=1
	s_abs_i32 s4, s24
	s_delay_alu instid0(SALU_CYCLE_1)
	s_mul_u64 s[20:21], s[4:5], s[0:1]
	s_ashr_i32 s20, s24, 31
	s_mul_i32 s22, s21, s25
	s_xor_b32 s20, s20, s3
	s_sub_co_i32 s4, s4, s22
	s_add_co_i32 s22, s21, 1
	s_sub_co_i32 s23, s4, s25
	s_cmp_ge_u32 s4, s25
	s_cselect_b32 s21, s22, s21
	s_cselect_b32 s4, s23, s4
	s_add_co_i32 s22, s21, 1
	s_cmp_ge_u32 s4, s25
	s_cselect_b32 s4, s22, s21
	s_delay_alu instid0(SALU_CYCLE_1) | instskip(NEXT) | instid1(SALU_CYCLE_1)
	s_xor_b32 s4, s4, s20
	s_sub_co_i32 s20, s4, s20
	s_delay_alu instid0(SALU_CYCLE_1)
	s_mul_i32 s4, s6, s20
	s_ashr_i32 s21, s20, 31
	s_add_co_i32 s22, s24, s4
	s_mul_u64 s[26:27], s[8:9], s[20:21]
	s_ashr_i32 s23, s22, 31
	s_lshl_b64 s[26:27], s[26:27], 3
	s_mul_u64 s[28:29], s[10:11], s[22:23]
	s_wait_kmcnt 0x0
	s_add_nc_u64 s[26:27], s[12:13], s[26:27]
	s_lshl_b64 s[28:29], s[28:29], 3
	s_mul_u64 s[20:21], s[16:17], s[20:21]
	s_add_nc_u64 s[26:27], s[26:27], s[28:29]
	s_lshl_b64 s[20:21], s[20:21], 3
	s_wait_xcnt 0x0
	v_lshl_add_u64 v[8:9], v[4:5], 3, s[26:27]
	s_mul_u64 s[22:23], s[18:19], s[22:23]
	s_add_nc_u64 s[20:21], s[14:15], s[20:21]
	s_lshl_b64 s[22:23], s[22:23], 3
	s_add_co_i32 s24, s24, s2
	v_lshl_add_u64 v[8:9], v[6:7], 3, v[8:9]
	s_add_nc_u64 s[20:21], s[20:21], s[22:23]
	s_cmp_ge_i32 s24, s7
	v_lshl_add_u64 v[10:11], v[0:1], 3, s[20:21]
	global_load_b64 v[8:9], v[8:9], off
	v_lshl_add_u64 v[10:11], v[2:3], 3, v[10:11]
	s_wait_loadcnt 0x0
	global_store_b64 v[10:11], v[8:9], off
	s_cbranch_scc0 .LBB0_16
.LBB0_17:
	s_endpgm
	.section	.rodata,"a",@progbits
	.p2align	6, 0x0
	.amdhsa_kernel _ZN2at6native12_GLOBAL__N_137upsample_bicubic2d_out_frame_parallelIddEEviT0_S3_bN5torch10headeronly6detail27GenericPackedTensorAccessorINS6_14TensorAccessorIN3c108ArrayRefIlEEKT_Lm3ENS5_16DefaultPtrTraitsElEENS_6detail16IndexBoundsCheckILm4ElEESD_Lm4ESE_lEENS7_INS8_ISB_SC_Lm3ESE_lEESI_SC_Lm4ESE_lEE
		.amdhsa_group_segment_fixed_size 0
		.amdhsa_private_segment_fixed_size 0
		.amdhsa_kernarg_size 432
		.amdhsa_user_sgpr_count 2
		.amdhsa_user_sgpr_dispatch_ptr 0
		.amdhsa_user_sgpr_queue_ptr 0
		.amdhsa_user_sgpr_kernarg_segment_ptr 1
		.amdhsa_user_sgpr_dispatch_id 0
		.amdhsa_user_sgpr_kernarg_preload_length 0
		.amdhsa_user_sgpr_kernarg_preload_offset 0
		.amdhsa_user_sgpr_private_segment_size 0
		.amdhsa_wavefront_size32 1
		.amdhsa_uses_dynamic_stack 0
		.amdhsa_enable_private_segment 0
		.amdhsa_system_sgpr_workgroup_id_x 1
		.amdhsa_system_sgpr_workgroup_id_y 0
		.amdhsa_system_sgpr_workgroup_id_z 1
		.amdhsa_system_sgpr_workgroup_info 0
		.amdhsa_system_vgpr_workitem_id 0
		.amdhsa_next_free_vgpr 64
		.amdhsa_next_free_sgpr 38
		.amdhsa_named_barrier_count 0
		.amdhsa_reserve_vcc 1
		.amdhsa_float_round_mode_32 0
		.amdhsa_float_round_mode_16_64 0
		.amdhsa_float_denorm_mode_32 3
		.amdhsa_float_denorm_mode_16_64 3
		.amdhsa_fp16_overflow 0
		.amdhsa_memory_ordered 1
		.amdhsa_forward_progress 1
		.amdhsa_inst_pref_size 19
		.amdhsa_round_robin_scheduling 0
		.amdhsa_exception_fp_ieee_invalid_op 0
		.amdhsa_exception_fp_denorm_src 0
		.amdhsa_exception_fp_ieee_div_zero 0
		.amdhsa_exception_fp_ieee_overflow 0
		.amdhsa_exception_fp_ieee_underflow 0
		.amdhsa_exception_fp_ieee_inexact 0
		.amdhsa_exception_int_div_zero 0
	.end_amdhsa_kernel
	.section	.text._ZN2at6native12_GLOBAL__N_137upsample_bicubic2d_out_frame_parallelIddEEviT0_S3_bN5torch10headeronly6detail27GenericPackedTensorAccessorINS6_14TensorAccessorIN3c108ArrayRefIlEEKT_Lm3ENS5_16DefaultPtrTraitsElEENS_6detail16IndexBoundsCheckILm4ElEESD_Lm4ESE_lEENS7_INS8_ISB_SC_Lm3ESE_lEESI_SC_Lm4ESE_lEE,"axG",@progbits,_ZN2at6native12_GLOBAL__N_137upsample_bicubic2d_out_frame_parallelIddEEviT0_S3_bN5torch10headeronly6detail27GenericPackedTensorAccessorINS6_14TensorAccessorIN3c108ArrayRefIlEEKT_Lm3ENS5_16DefaultPtrTraitsElEENS_6detail16IndexBoundsCheckILm4ElEESD_Lm4ESE_lEENS7_INS8_ISB_SC_Lm3ESE_lEESI_SC_Lm4ESE_lEE,comdat
.Lfunc_end0:
	.size	_ZN2at6native12_GLOBAL__N_137upsample_bicubic2d_out_frame_parallelIddEEviT0_S3_bN5torch10headeronly6detail27GenericPackedTensorAccessorINS6_14TensorAccessorIN3c108ArrayRefIlEEKT_Lm3ENS5_16DefaultPtrTraitsElEENS_6detail16IndexBoundsCheckILm4ElEESD_Lm4ESE_lEENS7_INS8_ISB_SC_Lm3ESE_lEESI_SC_Lm4ESE_lEE, .Lfunc_end0-_ZN2at6native12_GLOBAL__N_137upsample_bicubic2d_out_frame_parallelIddEEviT0_S3_bN5torch10headeronly6detail27GenericPackedTensorAccessorINS6_14TensorAccessorIN3c108ArrayRefIlEEKT_Lm3ENS5_16DefaultPtrTraitsElEENS_6detail16IndexBoundsCheckILm4ElEESD_Lm4ESE_lEENS7_INS8_ISB_SC_Lm3ESE_lEESI_SC_Lm4ESE_lEE
                                        ; -- End function
	.set _ZN2at6native12_GLOBAL__N_137upsample_bicubic2d_out_frame_parallelIddEEviT0_S3_bN5torch10headeronly6detail27GenericPackedTensorAccessorINS6_14TensorAccessorIN3c108ArrayRefIlEEKT_Lm3ENS5_16DefaultPtrTraitsElEENS_6detail16IndexBoundsCheckILm4ElEESD_Lm4ESE_lEENS7_INS8_ISB_SC_Lm3ESE_lEESI_SC_Lm4ESE_lEE.num_vgpr, 64
	.set _ZN2at6native12_GLOBAL__N_137upsample_bicubic2d_out_frame_parallelIddEEviT0_S3_bN5torch10headeronly6detail27GenericPackedTensorAccessorINS6_14TensorAccessorIN3c108ArrayRefIlEEKT_Lm3ENS5_16DefaultPtrTraitsElEENS_6detail16IndexBoundsCheckILm4ElEESD_Lm4ESE_lEENS7_INS8_ISB_SC_Lm3ESE_lEESI_SC_Lm4ESE_lEE.num_agpr, 0
	.set _ZN2at6native12_GLOBAL__N_137upsample_bicubic2d_out_frame_parallelIddEEviT0_S3_bN5torch10headeronly6detail27GenericPackedTensorAccessorINS6_14TensorAccessorIN3c108ArrayRefIlEEKT_Lm3ENS5_16DefaultPtrTraitsElEENS_6detail16IndexBoundsCheckILm4ElEESD_Lm4ESE_lEENS7_INS8_ISB_SC_Lm3ESE_lEESI_SC_Lm4ESE_lEE.numbered_sgpr, 38
	.set _ZN2at6native12_GLOBAL__N_137upsample_bicubic2d_out_frame_parallelIddEEviT0_S3_bN5torch10headeronly6detail27GenericPackedTensorAccessorINS6_14TensorAccessorIN3c108ArrayRefIlEEKT_Lm3ENS5_16DefaultPtrTraitsElEENS_6detail16IndexBoundsCheckILm4ElEESD_Lm4ESE_lEENS7_INS8_ISB_SC_Lm3ESE_lEESI_SC_Lm4ESE_lEE.num_named_barrier, 0
	.set _ZN2at6native12_GLOBAL__N_137upsample_bicubic2d_out_frame_parallelIddEEviT0_S3_bN5torch10headeronly6detail27GenericPackedTensorAccessorINS6_14TensorAccessorIN3c108ArrayRefIlEEKT_Lm3ENS5_16DefaultPtrTraitsElEENS_6detail16IndexBoundsCheckILm4ElEESD_Lm4ESE_lEENS7_INS8_ISB_SC_Lm3ESE_lEESI_SC_Lm4ESE_lEE.private_seg_size, 0
	.set _ZN2at6native12_GLOBAL__N_137upsample_bicubic2d_out_frame_parallelIddEEviT0_S3_bN5torch10headeronly6detail27GenericPackedTensorAccessorINS6_14TensorAccessorIN3c108ArrayRefIlEEKT_Lm3ENS5_16DefaultPtrTraitsElEENS_6detail16IndexBoundsCheckILm4ElEESD_Lm4ESE_lEENS7_INS8_ISB_SC_Lm3ESE_lEESI_SC_Lm4ESE_lEE.uses_vcc, 1
	.set _ZN2at6native12_GLOBAL__N_137upsample_bicubic2d_out_frame_parallelIddEEviT0_S3_bN5torch10headeronly6detail27GenericPackedTensorAccessorINS6_14TensorAccessorIN3c108ArrayRefIlEEKT_Lm3ENS5_16DefaultPtrTraitsElEENS_6detail16IndexBoundsCheckILm4ElEESD_Lm4ESE_lEENS7_INS8_ISB_SC_Lm3ESE_lEESI_SC_Lm4ESE_lEE.uses_flat_scratch, 0
	.set _ZN2at6native12_GLOBAL__N_137upsample_bicubic2d_out_frame_parallelIddEEviT0_S3_bN5torch10headeronly6detail27GenericPackedTensorAccessorINS6_14TensorAccessorIN3c108ArrayRefIlEEKT_Lm3ENS5_16DefaultPtrTraitsElEENS_6detail16IndexBoundsCheckILm4ElEESD_Lm4ESE_lEENS7_INS8_ISB_SC_Lm3ESE_lEESI_SC_Lm4ESE_lEE.has_dyn_sized_stack, 0
	.set _ZN2at6native12_GLOBAL__N_137upsample_bicubic2d_out_frame_parallelIddEEviT0_S3_bN5torch10headeronly6detail27GenericPackedTensorAccessorINS6_14TensorAccessorIN3c108ArrayRefIlEEKT_Lm3ENS5_16DefaultPtrTraitsElEENS_6detail16IndexBoundsCheckILm4ElEESD_Lm4ESE_lEENS7_INS8_ISB_SC_Lm3ESE_lEESI_SC_Lm4ESE_lEE.has_recursion, 0
	.set _ZN2at6native12_GLOBAL__N_137upsample_bicubic2d_out_frame_parallelIddEEviT0_S3_bN5torch10headeronly6detail27GenericPackedTensorAccessorINS6_14TensorAccessorIN3c108ArrayRefIlEEKT_Lm3ENS5_16DefaultPtrTraitsElEENS_6detail16IndexBoundsCheckILm4ElEESD_Lm4ESE_lEENS7_INS8_ISB_SC_Lm3ESE_lEESI_SC_Lm4ESE_lEE.has_indirect_call, 0
	.section	.AMDGPU.csdata,"",@progbits
; Kernel info:
; codeLenInByte = 2356
; TotalNumSgprs: 40
; NumVgprs: 64
; ScratchSize: 0
; MemoryBound: 0
; FloatMode: 240
; IeeeMode: 1
; LDSByteSize: 0 bytes/workgroup (compile time only)
; SGPRBlocks: 0
; VGPRBlocks: 3
; NumSGPRsForWavesPerEU: 40
; NumVGPRsForWavesPerEU: 64
; NamedBarCnt: 0
; Occupancy: 16
; WaveLimiterHint : 1
; COMPUTE_PGM_RSRC2:SCRATCH_EN: 0
; COMPUTE_PGM_RSRC2:USER_SGPR: 2
; COMPUTE_PGM_RSRC2:TRAP_HANDLER: 0
; COMPUTE_PGM_RSRC2:TGID_X_EN: 1
; COMPUTE_PGM_RSRC2:TGID_Y_EN: 0
; COMPUTE_PGM_RSRC2:TGID_Z_EN: 1
; COMPUTE_PGM_RSRC2:TIDIG_COMP_CNT: 0
	.section	.text._ZN2at6native12_GLOBAL__N_128upsample_bicubic2d_out_frameIddEEviT0_S3_bN5torch10headeronly6detail27GenericPackedTensorAccessorINS6_14TensorAccessorIN3c108ArrayRefIlEEKT_Lm3ENS5_16DefaultPtrTraitsElEENS_6detail16IndexBoundsCheckILm4ElEESD_Lm4ESE_lEENS7_INS8_ISB_SC_Lm3ESE_lEESI_SC_Lm4ESE_lEE,"axG",@progbits,_ZN2at6native12_GLOBAL__N_128upsample_bicubic2d_out_frameIddEEviT0_S3_bN5torch10headeronly6detail27GenericPackedTensorAccessorINS6_14TensorAccessorIN3c108ArrayRefIlEEKT_Lm3ENS5_16DefaultPtrTraitsElEENS_6detail16IndexBoundsCheckILm4ElEESD_Lm4ESE_lEENS7_INS8_ISB_SC_Lm3ESE_lEESI_SC_Lm4ESE_lEE,comdat
	.globl	_ZN2at6native12_GLOBAL__N_128upsample_bicubic2d_out_frameIddEEviT0_S3_bN5torch10headeronly6detail27GenericPackedTensorAccessorINS6_14TensorAccessorIN3c108ArrayRefIlEEKT_Lm3ENS5_16DefaultPtrTraitsElEENS_6detail16IndexBoundsCheckILm4ElEESD_Lm4ESE_lEENS7_INS8_ISB_SC_Lm3ESE_lEESI_SC_Lm4ESE_lEE ; -- Begin function _ZN2at6native12_GLOBAL__N_128upsample_bicubic2d_out_frameIddEEviT0_S3_bN5torch10headeronly6detail27GenericPackedTensorAccessorINS6_14TensorAccessorIN3c108ArrayRefIlEEKT_Lm3ENS5_16DefaultPtrTraitsElEENS_6detail16IndexBoundsCheckILm4ElEESD_Lm4ESE_lEENS7_INS8_ISB_SC_Lm3ESE_lEESI_SC_Lm4ESE_lEE
	.p2align	8
	.type	_ZN2at6native12_GLOBAL__N_128upsample_bicubic2d_out_frameIddEEviT0_S3_bN5torch10headeronly6detail27GenericPackedTensorAccessorINS6_14TensorAccessorIN3c108ArrayRefIlEEKT_Lm3ENS5_16DefaultPtrTraitsElEENS_6detail16IndexBoundsCheckILm4ElEESD_Lm4ESE_lEENS7_INS8_ISB_SC_Lm3ESE_lEESI_SC_Lm4ESE_lEE,@function
_ZN2at6native12_GLOBAL__N_128upsample_bicubic2d_out_frameIddEEviT0_S3_bN5torch10headeronly6detail27GenericPackedTensorAccessorINS6_14TensorAccessorIN3c108ArrayRefIlEEKT_Lm3ENS5_16DefaultPtrTraitsElEENS_6detail16IndexBoundsCheckILm4ElEESD_Lm4ESE_lEENS7_INS8_ISB_SC_Lm3ESE_lEESI_SC_Lm4ESE_lEE: ; @_ZN2at6native12_GLOBAL__N_128upsample_bicubic2d_out_frameIddEEviT0_S3_bN5torch10headeronly6detail27GenericPackedTensorAccessorINS6_14TensorAccessorIN3c108ArrayRefIlEEKT_Lm3ENS5_16DefaultPtrTraitsElEENS_6detail16IndexBoundsCheckILm4ElEESD_Lm4ESE_lEENS7_INS8_ISB_SC_Lm3ESE_lEESI_SC_Lm4ESE_lEE
; %bb.0:
	s_clause 0x1
	s_load_b32 s2, s[0:1], 0xbc
	s_load_b32 s3, s[0:1], 0x0
	s_bfe_u32 s4, ttmp6, 0x4000c
	s_and_b32 s5, ttmp6, 15
	s_add_co_i32 s4, s4, 1
	s_getreg_b32 s6, hwreg(HW_REG_IB_STS2, 6, 4)
	s_mul_i32 s4, ttmp9, s4
	s_delay_alu instid0(SALU_CYCLE_1) | instskip(SKIP_4) | instid1(SALU_CYCLE_1)
	s_add_co_i32 s5, s5, s4
	s_wait_kmcnt 0x0
	s_and_b32 s2, s2, 0xffff
	s_cmp_eq_u32 s6, 0
	s_cselect_b32 s4, ttmp9, s5
	v_mad_u32 v1, s4, s2, v0
	s_mov_b32 s2, exec_lo
	s_delay_alu instid0(VALU_DEP_1)
	v_cmpx_gt_i32_e64 s3, v1
	s_cbranch_execz .LBB1_22
; %bb.1:
	s_load_b128 s[12:15], s[0:1], 0x80
	s_wait_kmcnt 0x0
	s_abs_i32 s2, s14
	s_delay_alu instid0(SALU_CYCLE_1) | instskip(SKIP_1) | instid1(SALU_CYCLE_2)
	s_cvt_f32_u32 s3, s2
	s_sub_co_i32 s4, 0, s2
	v_rcp_iflag_f32_e32 v0, s3
	v_nop
	s_delay_alu instid0(TRANS32_DEP_1) | instskip(SKIP_2) | instid1(VALU_DEP_1)
	v_readfirstlane_b32 s3, v0
	v_sub_nc_u32_e32 v0, 0, v1
	s_mul_f32 s3, s3, 0x4f7ffffe
	v_max_i32_e32 v0, v1, v0
	s_delay_alu instid0(SALU_CYCLE_2) | instskip(NEXT) | instid1(SALU_CYCLE_3)
	s_cvt_u32_f32 s3, s3
	s_mul_i32 s4, s4, s3
	s_delay_alu instid0(SALU_CYCLE_1) | instskip(NEXT) | instid1(SALU_CYCLE_1)
	s_mul_hi_u32 s4, s3, s4
	s_add_co_i32 s3, s3, s4
	s_load_b256 s[4:11], s[0:1], 0x28
	v_mul_hi_u32 v2, v0, s3
	s_delay_alu instid0(VALU_DEP_1) | instskip(SKIP_2) | instid1(VALU_DEP_1)
	v_mul_lo_u32 v3, v2, s2
	s_wait_kmcnt 0x0
	s_cmp_lg_u32 s8, s12
	v_dual_sub_nc_u32 v0, v0, v3 :: v_dual_add_nc_u32 v3, 1, v2
	s_delay_alu instid0(VALU_DEP_1) | instskip(NEXT) | instid1(VALU_DEP_2)
	v_cmp_le_u32_e32 vcc_lo, s2, v0
	v_dual_cndmask_b32 v2, v2, v3, vcc_lo :: v_dual_bitop2_b32 v3, s14, v1 bitop3:0x14
	v_subrev_nc_u32_e32 v4, s2, v0
	s_delay_alu instid0(VALU_DEP_1) | instskip(NEXT) | instid1(VALU_DEP_1)
	v_dual_cndmask_b32 v0, v0, v4, vcc_lo :: v_dual_add_nc_u32 v4, 1, v2
	v_cmp_le_u32_e32 vcc_lo, s2, v0
	s_delay_alu instid0(VALU_DEP_4) | instskip(SKIP_4) | instid1(SALU_CYCLE_1)
	v_ashrrev_i32_e32 v3, 31, v3
	s_cselect_b32 s2, -1, 0
	s_cmp_lg_u32 s10, s14
	v_cndmask_b32_e32 v0, v2, v4, vcc_lo
	s_cselect_b32 s3, -1, 0
	s_or_b32 s2, s3, s2
	s_delay_alu instid0(VALU_DEP_1) | instskip(SKIP_2) | instid1(VALU_DEP_1)
	v_xor_b32_e32 v0, v0, v3
	s_and_b32 vcc_lo, exec_lo, s2
	s_mov_b32 s2, -1
	v_sub_nc_u32_e32 v0, v0, v3
	s_delay_alu instid0(VALU_DEP_1) | instskip(NEXT) | instid1(VALU_DEP_1)
	v_mul_lo_u32 v2, v0, s14
	v_sub_nc_u32_e32 v2, v1, v2
	s_cbranch_vccz .LBB1_16
; %bb.2:
	s_delay_alu instid0(VALU_DEP_1)
	v_cvt_f64_i32_e32 v[6:7], v2
	s_clause 0x1
	s_load_b32 s2, s[0:1], 0x18
	s_load_b128 s[12:15], s[0:1], 0x8
	s_mov_b32 s3, -1
                                        ; implicit-def: $vgpr4_vgpr5
	s_wait_kmcnt 0x0
	s_bitcmp1_b32 s2, 0
	s_cselect_b32 s2, -1, 0
	s_delay_alu instid0(SALU_CYCLE_1) | instskip(NEXT) | instid1(SALU_CYCLE_1)
	s_xor_b32 s2, s2, -1
	s_and_b32 vcc_lo, exec_lo, s2
	s_cbranch_vccnz .LBB1_6
; %bb.3:
	s_and_not1_b32 vcc_lo, exec_lo, s3
	s_cbranch_vccz .LBB1_7
.LBB1_4:
	v_cvt_f64_i32_e32 v[8:9], v0
	s_and_b32 vcc_lo, exec_lo, s2
	s_cbranch_vccz .LBB1_8
.LBB1_5:
	s_delay_alu instid0(VALU_DEP_1) | instskip(NEXT) | instid1(VALU_DEP_1)
	v_add_f64_e32 v[6:7], 0.5, v[8:9]
	v_fma_f64 v[6:7], s[12:13], v[6:7], -0.5
	s_cbranch_execz .LBB1_9
	s_branch .LBB1_10
.LBB1_6:
	s_delay_alu instid0(VALU_DEP_1) | instskip(NEXT) | instid1(VALU_DEP_1)
	v_add_f64_e32 v[4:5], 0.5, v[6:7]
	v_fma_f64 v[4:5], s[14:15], v[4:5], -0.5
	s_cbranch_execnz .LBB1_4
.LBB1_7:
	s_delay_alu instid0(VALU_DEP_1)
	v_mul_f64_e32 v[4:5], s[14:15], v[6:7]
	v_cvt_f64_i32_e32 v[8:9], v0
	s_and_b32 vcc_lo, exec_lo, s2
	s_cbranch_vccnz .LBB1_5
.LBB1_8:
                                        ; implicit-def: $vgpr6_vgpr7
.LBB1_9:
	s_delay_alu instid0(VALU_DEP_1)
	v_mul_f64_e32 v[6:7], s[12:13], v[8:9]
.LBB1_10:
	s_cmp_lt_i32 s4, 1
	s_cbranch_scc1 .LBB1_15
; %bb.11:
	s_delay_alu instid0(VALU_DEP_3) | instskip(NEXT) | instid1(VALU_DEP_2)
	v_cvt_f32_f64_e32 v1, v[4:5]
	v_cvt_f32_f64_e32 v3, v[6:7]
	s_mov_b64 s[2:3], 0x3ff4000000000000
	s_load_b256 s[12:19], s[0:1], 0x48
	s_mov_b64 s[20:21], 0xbfe8000000000000
	s_cmp_gt_i32 s6, 0
	s_mov_b32 s7, 0
	s_cselect_b32 s5, -1, 0
	v_mov_b32_e32 v37, 0
	s_delay_alu instid0(VALU_DEP_1)
	v_dual_mov_b32 v47, v37 :: v_dual_mov_b32 v49, v37
	v_dual_mov_b32 v39, v37 :: v_dual_mov_b32 v41, v37
	;; [unrolled: 1-line block ×3, first 2 shown]
	s_wait_kmcnt 0x0
	s_lshl_b64 s[12:13], s[12:13], 3
	s_lshl_b64 s[14:15], s[14:15], 3
	v_floor_f32_e32 v1, v1
	v_floor_f32_e32 v3, v3
	s_delay_alu instid0(VALU_DEP_2) | instskip(NEXT) | instid1(VALU_DEP_2)
	v_cvt_i32_f32_e32 v36, v1
	v_cvt_i32_f32_e32 v3, v3
	v_ashrrev_i32_e32 v1, 31, v0
	s_delay_alu instid0(VALU_DEP_3) | instskip(NEXT) | instid1(VALU_DEP_3)
	v_cvt_f64_i32_e32 v[8:9], v36
	v_cvt_f64_i32_e32 v[10:11], v3
	v_dual_add_nc_u32 v44, -1, v3 :: v_dual_add_nc_u32 v40, -1, v36
	v_dual_add_nc_u32 v42, 1, v36 :: v_dual_add_nc_u32 v48, 2, v36
	s_delay_alu instid0(VALU_DEP_4) | instskip(NEXT) | instid1(VALU_DEP_4)
	v_dual_add_f64 v[4:5], v[4:5], -v[8:9] :: v_dual_add_nc_u32 v52, 1, v3
	v_add_f64_e64 v[6:7], v[6:7], -v[10:11]
	s_delay_alu instid0(VALU_DEP_2) | instskip(NEXT) | instid1(VALU_DEP_2)
	v_add_f64_e64 v[10:11], -v[4:5], 1.0
	v_add_f64_e64 v[14:15], -v[6:7], 1.0
	v_add_f64_e32 v[8:9], 1.0, v[4:5]
	v_add_f64_e32 v[12:13], 1.0, v[6:7]
	v_fmaak_f64 v[20:21], s[2:3], v[4:5], 0xc0020000
	v_fmaak_f64 v[22:23], s[2:3], v[6:7], 0xc0020000
	s_delay_alu instid0(VALU_DEP_2) | instskip(NEXT) | instid1(VALU_DEP_2)
	v_mul_f64_e32 v[20:21], v[4:5], v[20:21]
	v_mul_f64_e32 v[22:23], v[6:7], v[22:23]
	v_add_f64_e32 v[16:17], 1.0, v[10:11]
	v_add_f64_e32 v[18:19], 1.0, v[14:15]
	v_fmaak_f64 v[26:27], s[2:3], v[10:11], 0xc0020000
	v_fmaak_f64 v[30:31], s[2:3], v[14:15], 0xc0020000
	;; [unrolled: 1-line block ×4, first 2 shown]
	s_add_co_i32 s2, s8, -1
	s_add_co_i32 s3, s10, -1
	v_minmax_i32 v46, v3, s2, 0
	v_mul_f64_e32 v[26:27], v[10:11], v[26:27]
	v_mul_f64_e32 v[30:31], v[14:15], v[30:31]
	v_minmax_i32 v38, v36, s3, 0
	v_add_nc_u32_e32 v3, 2, v3
	v_minmax_i32 v36, v40, s3, 0
	v_minmax_i32 v40, v42, s3, 0
	;; [unrolled: 1-line block ×5, first 2 shown]
	v_mul_u64_e32 v[50:51], s[18:19], v[36:37]
	v_minmax_i32 v36, v3, s2, 0
	v_mul_u64_e32 v[38:39], s[18:19], v[38:39]
	v_mul_u64_e32 v[44:45], s[16:17], v[44:45]
	;; [unrolled: 1-line block ×7, first 2 shown]
	v_ashrrev_i32_e32 v3, 31, v2
	v_fma_f64 v[4:5], v[4:5], v[20:21], 1.0
	v_fma_f64 v[6:7], v[6:7], v[22:23], 1.0
	s_clause 0x1
	s_load_b64 s[8:9], s[0:1], 0x68
	s_load_b64 s[2:3], s[0:1], 0x20
	v_fmaak_f64 v[32:33], s[20:21], v[16:17], 0x400e0000
	v_fmaak_f64 v[34:35], s[20:21], v[18:19], 0x400e0000
	s_load_b256 s[20:27], s[0:1], 0x90
	v_fmaak_f64 v[24:25], v[8:9], v[24:25], 0xc0180000
	v_fmaak_f64 v[28:29], v[12:13], v[28:29], 0xc0180000
	s_delay_alu instid0(VALU_DEP_4) | instskip(NEXT) | instid1(VALU_DEP_4)
	v_fmaak_f64 v[32:33], v[16:17], v[32:33], 0xc0180000
	v_fmaak_f64 v[34:35], v[18:19], v[34:35], 0xc0180000
	v_fma_f64 v[10:11], v[10:11], v[26:27], 1.0
	v_fma_f64 v[14:15], v[14:15], v[30:31], 1.0
	v_fmaak_f64 v[8:9], v[8:9], v[24:25], 0x40080000
	v_fmaak_f64 v[12:13], v[12:13], v[28:29], 0x40080000
	;; [unrolled: 1-line block ×4, first 2 shown]
	v_lshlrev_b64_e32 v[26:27], 3, v[44:45]
	s_wait_kmcnt 0x0
	v_mul_u64_e32 v[52:53], s[24:25], v[0:1]
	v_mul_u64_e32 v[54:55], s[26:27], v[2:3]
	v_lshlrev_b64_e32 v[44:45], 3, v[50:51]
	v_lshlrev_b64_e32 v[50:51], 3, v[38:39]
	;; [unrolled: 1-line block ×7, first 2 shown]
	v_add_nc_u64_e32 v[20:21], v[26:27], v[44:45]
	v_add_nc_u64_e32 v[22:23], v[50:51], v[26:27]
	;; [unrolled: 1-line block ×16, first 2 shown]
	s_lshl_b64 s[10:11], s[22:23], 3
	v_lshl_add_u64 v[52:53], v[52:53], 3, s[8:9]
	s_lshl_b64 s[8:9], s[20:21], 3
	s_delay_alu instid0(VALU_DEP_1)
	v_lshl_add_u64 v[52:53], v[54:55], 3, v[52:53]
	s_branch .LBB1_13
.LBB1_12:                               ;   in Loop: Header=BB1_13 Depth=1
	v_add_nc_u64_e32 v[52:53], s[8:9], v[52:53]
	s_add_co_i32 s7, s7, 1
	s_add_nc_u64 s[2:3], s[2:3], s[12:13]
	s_cmp_lg_u32 s7, s4
	s_cbranch_scc0 .LBB1_15
.LBB1_13:                               ; =>This Loop Header: Depth=1
                                        ;     Child Loop BB1_14 Depth 2
	s_delay_alu instid0(VALU_DEP_1)
	v_mov_b64_e32 v[54:55], v[52:53]
	s_and_not1_b32 vcc_lo, exec_lo, s5
	s_mov_b64 s[16:17], s[2:3]
	s_mov_b32 s18, s6
	s_cbranch_vccnz .LBB1_12
.LBB1_14:                               ;   Parent Loop BB1_13 Depth=1
                                        ; =>  This Inner Loop Header: Depth=2
	v_add_nc_u64_e32 v[56:57], s[16:17], v[22:23]
	v_add_nc_u64_e32 v[70:71], s[16:17], v[24:25]
	;; [unrolled: 1-line block ×9, first 2 shown]
	s_clause 0x8
	global_load_b64 v[56:57], v[56:57], off
	global_load_b64 v[70:71], v[70:71], off
	;; [unrolled: 1-line block ×9, first 2 shown]
	v_add_nc_u64_e32 v[74:75], s[16:17], v[40:41]
	v_add_nc_u64_e32 v[80:81], s[16:17], v[42:43]
	;; [unrolled: 1-line block ×4, first 2 shown]
	s_clause 0x3
	global_load_b64 v[74:75], v[74:75], off
	global_load_b64 v[80:81], v[80:81], off
	;; [unrolled: 1-line block ×4, first 2 shown]
	s_add_co_i32 s18, s18, -1
	s_delay_alu instid0(SALU_CYCLE_1)
	s_cmp_lg_u32 s18, 0
	s_wait_loadcnt 0xc
	s_wait_xcnt 0xc
	v_mul_f64_e32 v[56:57], v[4:5], v[56:57]
	s_wait_loadcnt 0x8
	s_wait_xcnt 0x8
	v_mul_f64_e32 v[60:61], v[4:5], v[60:61]
	;; [unrolled: 3-line block ×4, first 2 shown]
	s_delay_alu instid0(VALU_DEP_4)
	v_fmac_f64_e32 v[56:57], v[8:9], v[58:59]
	v_add_nc_u64_e32 v[58:59], s[16:17], v[48:49]
	v_fmac_f64_e32 v[60:61], v[8:9], v[62:63]
	v_add_nc_u64_e32 v[62:63], s[16:17], v[50:51]
	v_fmac_f64_e32 v[64:65], v[8:9], v[66:67]
	v_fmac_f64_e32 v[56:57], v[10:11], v[70:71]
	v_add_nc_u64_e32 v[70:71], s[16:17], v[44:45]
	s_add_nc_u64 s[16:17], s[16:17], s[14:15]
	s_clause 0x2
	global_load_b64 v[58:59], v[58:59], off
	global_load_b64 v[62:63], v[62:63], off
	;; [unrolled: 1-line block ×3, first 2 shown]
	v_fmac_f64_e32 v[60:61], v[10:11], v[72:73]
	v_fmac_f64_e32 v[64:65], v[10:11], v[74:75]
	;; [unrolled: 1-line block ×3, first 2 shown]
	s_delay_alu instid0(VALU_DEP_3) | instskip(NEXT) | instid1(VALU_DEP_3)
	v_fmac_f64_e32 v[60:61], v[16:17], v[78:79]
	v_fmac_f64_e32 v[64:65], v[16:17], v[80:81]
	s_delay_alu instid0(VALU_DEP_3) | instskip(NEXT) | instid1(VALU_DEP_1)
	v_mul_f64_e32 v[56:57], v[12:13], v[56:57]
	v_fmac_f64_e32 v[56:57], v[6:7], v[60:61]
	s_delay_alu instid0(VALU_DEP_1) | instskip(SKIP_2) | instid1(VALU_DEP_1)
	v_fmac_f64_e32 v[56:57], v[14:15], v[64:65]
	s_wait_loadcnt 0x0
	v_fmac_f64_e32 v[68:69], v[8:9], v[70:71]
	v_fmac_f64_e32 v[68:69], v[10:11], v[58:59]
	s_delay_alu instid0(VALU_DEP_1) | instskip(NEXT) | instid1(VALU_DEP_1)
	v_fmac_f64_e32 v[68:69], v[16:17], v[62:63]
	v_fmac_f64_e32 v[56:57], v[18:19], v[68:69]
	global_store_b64 v[54:55], v[56:57], off
	s_wait_xcnt 0x0
	v_add_nc_u64_e32 v[54:55], s[10:11], v[54:55]
	s_cbranch_scc1 .LBB1_14
	s_branch .LBB1_12
.LBB1_15:
	s_mov_b32 s2, 0
.LBB1_16:
	s_delay_alu instid0(SALU_CYCLE_1)
	s_and_b32 vcc_lo, exec_lo, s2
	s_cbranch_vccz .LBB1_22
; %bb.17:
	s_cmp_lt_i32 s4, 1
	s_cbranch_scc1 .LBB1_22
; %bb.18:
	s_clause 0x1
	s_load_b256 s[8:15], s[0:1], 0x48
	s_load_b256 s[16:23], s[0:1], 0x90
	v_dual_ashrrev_i32 v1, 31, v0 :: v_dual_ashrrev_i32 v3, 31, v2
	s_cmp_gt_i32 s6, 0
	s_mov_b32 s5, 0
	s_cselect_b32 s7, -1, 0
	s_wait_kmcnt 0x0
	v_mul_u64_e32 v[4:5], s[12:13], v[0:1]
	v_mul_u64_e32 v[0:1], s[20:21], v[0:1]
	v_mul_u64_e32 v[6:7], s[14:15], v[2:3]
	v_mul_u64_e32 v[2:3], s[22:23], v[2:3]
	s_clause 0x1
	s_load_b64 s[2:3], s[0:1], 0x20
	s_load_b64 s[12:13], s[0:1], 0x68
	s_wait_xcnt 0x0
	s_lshl_b64 s[0:1], s[16:17], 3
	s_lshl_b64 s[8:9], s[8:9], 3
	;; [unrolled: 1-line block ×3, first 2 shown]
	s_wait_kmcnt 0x0
	s_delay_alu instid0(VALU_DEP_4) | instskip(NEXT) | instid1(VALU_DEP_4)
	v_lshl_add_u64 v[4:5], v[4:5], 3, s[2:3]
	v_lshl_add_u64 v[8:9], v[0:1], 3, s[12:13]
	s_lshl_b64 s[2:3], s[18:19], 3
	s_delay_alu instid0(VALU_DEP_2) | instskip(NEXT) | instid1(VALU_DEP_2)
	v_lshl_add_u64 v[0:1], v[6:7], 3, v[4:5]
	v_lshl_add_u64 v[2:3], v[2:3], 3, v[8:9]
	s_branch .LBB1_20
.LBB1_19:                               ;   in Loop: Header=BB1_20 Depth=1
	v_add_nc_u64_e32 v[2:3], s[0:1], v[2:3]
	v_add_nc_u64_e32 v[0:1], s[8:9], v[0:1]
	s_add_co_i32 s5, s5, 1
	s_delay_alu instid0(SALU_CYCLE_1)
	s_cmp_eq_u32 s5, s4
	s_cbranch_scc1 .LBB1_22
.LBB1_20:                               ; =>This Loop Header: Depth=1
                                        ;     Child Loop BB1_21 Depth 2
	s_delay_alu instid0(VALU_DEP_1) | instskip(NEXT) | instid1(VALU_DEP_2)
	v_mov_b64_e32 v[4:5], v[0:1]
	v_mov_b64_e32 v[6:7], v[2:3]
	s_and_not1_b32 vcc_lo, exec_lo, s7
	s_mov_b32 s12, s6
	s_cbranch_vccnz .LBB1_19
.LBB1_21:                               ;   Parent Loop BB1_20 Depth=1
                                        ; =>  This Inner Loop Header: Depth=2
	global_load_b64 v[8:9], v[4:5], off
	s_wait_xcnt 0x0
	v_add_nc_u64_e32 v[4:5], s[10:11], v[4:5]
	s_add_co_i32 s12, s12, -1
	s_delay_alu instid0(SALU_CYCLE_1)
	s_cmp_eq_u32 s12, 0
	s_wait_loadcnt 0x0
	global_store_b64 v[6:7], v[8:9], off
	s_wait_xcnt 0x0
	v_add_nc_u64_e32 v[6:7], s[2:3], v[6:7]
	s_cbranch_scc0 .LBB1_21
	s_branch .LBB1_19
.LBB1_22:
	s_sendmsg sendmsg(MSG_DEALLOC_VGPRS)
	s_endpgm
	.section	.rodata,"a",@progbits
	.p2align	6, 0x0
	.amdhsa_kernel _ZN2at6native12_GLOBAL__N_128upsample_bicubic2d_out_frameIddEEviT0_S3_bN5torch10headeronly6detail27GenericPackedTensorAccessorINS6_14TensorAccessorIN3c108ArrayRefIlEEKT_Lm3ENS5_16DefaultPtrTraitsElEENS_6detail16IndexBoundsCheckILm4ElEESD_Lm4ESE_lEENS7_INS8_ISB_SC_Lm3ESE_lEESI_SC_Lm4ESE_lEE
		.amdhsa_group_segment_fixed_size 0
		.amdhsa_private_segment_fixed_size 0
		.amdhsa_kernarg_size 432
		.amdhsa_user_sgpr_count 2
		.amdhsa_user_sgpr_dispatch_ptr 0
		.amdhsa_user_sgpr_queue_ptr 0
		.amdhsa_user_sgpr_kernarg_segment_ptr 1
		.amdhsa_user_sgpr_dispatch_id 0
		.amdhsa_user_sgpr_kernarg_preload_length 0
		.amdhsa_user_sgpr_kernarg_preload_offset 0
		.amdhsa_user_sgpr_private_segment_size 0
		.amdhsa_wavefront_size32 1
		.amdhsa_uses_dynamic_stack 0
		.amdhsa_enable_private_segment 0
		.amdhsa_system_sgpr_workgroup_id_x 1
		.amdhsa_system_sgpr_workgroup_id_y 0
		.amdhsa_system_sgpr_workgroup_id_z 0
		.amdhsa_system_sgpr_workgroup_info 0
		.amdhsa_system_vgpr_workitem_id 0
		.amdhsa_next_free_vgpr 82
		.amdhsa_next_free_sgpr 28
		.amdhsa_named_barrier_count 0
		.amdhsa_reserve_vcc 1
		.amdhsa_float_round_mode_32 0
		.amdhsa_float_round_mode_16_64 0
		.amdhsa_float_denorm_mode_32 3
		.amdhsa_float_denorm_mode_16_64 3
		.amdhsa_fp16_overflow 0
		.amdhsa_memory_ordered 1
		.amdhsa_forward_progress 1
		.amdhsa_inst_pref_size 17
		.amdhsa_round_robin_scheduling 0
		.amdhsa_exception_fp_ieee_invalid_op 0
		.amdhsa_exception_fp_denorm_src 0
		.amdhsa_exception_fp_ieee_div_zero 0
		.amdhsa_exception_fp_ieee_overflow 0
		.amdhsa_exception_fp_ieee_underflow 0
		.amdhsa_exception_fp_ieee_inexact 0
		.amdhsa_exception_int_div_zero 0
	.end_amdhsa_kernel
	.section	.text._ZN2at6native12_GLOBAL__N_128upsample_bicubic2d_out_frameIddEEviT0_S3_bN5torch10headeronly6detail27GenericPackedTensorAccessorINS6_14TensorAccessorIN3c108ArrayRefIlEEKT_Lm3ENS5_16DefaultPtrTraitsElEENS_6detail16IndexBoundsCheckILm4ElEESD_Lm4ESE_lEENS7_INS8_ISB_SC_Lm3ESE_lEESI_SC_Lm4ESE_lEE,"axG",@progbits,_ZN2at6native12_GLOBAL__N_128upsample_bicubic2d_out_frameIddEEviT0_S3_bN5torch10headeronly6detail27GenericPackedTensorAccessorINS6_14TensorAccessorIN3c108ArrayRefIlEEKT_Lm3ENS5_16DefaultPtrTraitsElEENS_6detail16IndexBoundsCheckILm4ElEESD_Lm4ESE_lEENS7_INS8_ISB_SC_Lm3ESE_lEESI_SC_Lm4ESE_lEE,comdat
.Lfunc_end1:
	.size	_ZN2at6native12_GLOBAL__N_128upsample_bicubic2d_out_frameIddEEviT0_S3_bN5torch10headeronly6detail27GenericPackedTensorAccessorINS6_14TensorAccessorIN3c108ArrayRefIlEEKT_Lm3ENS5_16DefaultPtrTraitsElEENS_6detail16IndexBoundsCheckILm4ElEESD_Lm4ESE_lEENS7_INS8_ISB_SC_Lm3ESE_lEESI_SC_Lm4ESE_lEE, .Lfunc_end1-_ZN2at6native12_GLOBAL__N_128upsample_bicubic2d_out_frameIddEEviT0_S3_bN5torch10headeronly6detail27GenericPackedTensorAccessorINS6_14TensorAccessorIN3c108ArrayRefIlEEKT_Lm3ENS5_16DefaultPtrTraitsElEENS_6detail16IndexBoundsCheckILm4ElEESD_Lm4ESE_lEENS7_INS8_ISB_SC_Lm3ESE_lEESI_SC_Lm4ESE_lEE
                                        ; -- End function
	.set _ZN2at6native12_GLOBAL__N_128upsample_bicubic2d_out_frameIddEEviT0_S3_bN5torch10headeronly6detail27GenericPackedTensorAccessorINS6_14TensorAccessorIN3c108ArrayRefIlEEKT_Lm3ENS5_16DefaultPtrTraitsElEENS_6detail16IndexBoundsCheckILm4ElEESD_Lm4ESE_lEENS7_INS8_ISB_SC_Lm3ESE_lEESI_SC_Lm4ESE_lEE.num_vgpr, 82
	.set _ZN2at6native12_GLOBAL__N_128upsample_bicubic2d_out_frameIddEEviT0_S3_bN5torch10headeronly6detail27GenericPackedTensorAccessorINS6_14TensorAccessorIN3c108ArrayRefIlEEKT_Lm3ENS5_16DefaultPtrTraitsElEENS_6detail16IndexBoundsCheckILm4ElEESD_Lm4ESE_lEENS7_INS8_ISB_SC_Lm3ESE_lEESI_SC_Lm4ESE_lEE.num_agpr, 0
	.set _ZN2at6native12_GLOBAL__N_128upsample_bicubic2d_out_frameIddEEviT0_S3_bN5torch10headeronly6detail27GenericPackedTensorAccessorINS6_14TensorAccessorIN3c108ArrayRefIlEEKT_Lm3ENS5_16DefaultPtrTraitsElEENS_6detail16IndexBoundsCheckILm4ElEESD_Lm4ESE_lEENS7_INS8_ISB_SC_Lm3ESE_lEESI_SC_Lm4ESE_lEE.numbered_sgpr, 28
	.set _ZN2at6native12_GLOBAL__N_128upsample_bicubic2d_out_frameIddEEviT0_S3_bN5torch10headeronly6detail27GenericPackedTensorAccessorINS6_14TensorAccessorIN3c108ArrayRefIlEEKT_Lm3ENS5_16DefaultPtrTraitsElEENS_6detail16IndexBoundsCheckILm4ElEESD_Lm4ESE_lEENS7_INS8_ISB_SC_Lm3ESE_lEESI_SC_Lm4ESE_lEE.num_named_barrier, 0
	.set _ZN2at6native12_GLOBAL__N_128upsample_bicubic2d_out_frameIddEEviT0_S3_bN5torch10headeronly6detail27GenericPackedTensorAccessorINS6_14TensorAccessorIN3c108ArrayRefIlEEKT_Lm3ENS5_16DefaultPtrTraitsElEENS_6detail16IndexBoundsCheckILm4ElEESD_Lm4ESE_lEENS7_INS8_ISB_SC_Lm3ESE_lEESI_SC_Lm4ESE_lEE.private_seg_size, 0
	.set _ZN2at6native12_GLOBAL__N_128upsample_bicubic2d_out_frameIddEEviT0_S3_bN5torch10headeronly6detail27GenericPackedTensorAccessorINS6_14TensorAccessorIN3c108ArrayRefIlEEKT_Lm3ENS5_16DefaultPtrTraitsElEENS_6detail16IndexBoundsCheckILm4ElEESD_Lm4ESE_lEENS7_INS8_ISB_SC_Lm3ESE_lEESI_SC_Lm4ESE_lEE.uses_vcc, 1
	.set _ZN2at6native12_GLOBAL__N_128upsample_bicubic2d_out_frameIddEEviT0_S3_bN5torch10headeronly6detail27GenericPackedTensorAccessorINS6_14TensorAccessorIN3c108ArrayRefIlEEKT_Lm3ENS5_16DefaultPtrTraitsElEENS_6detail16IndexBoundsCheckILm4ElEESD_Lm4ESE_lEENS7_INS8_ISB_SC_Lm3ESE_lEESI_SC_Lm4ESE_lEE.uses_flat_scratch, 0
	.set _ZN2at6native12_GLOBAL__N_128upsample_bicubic2d_out_frameIddEEviT0_S3_bN5torch10headeronly6detail27GenericPackedTensorAccessorINS6_14TensorAccessorIN3c108ArrayRefIlEEKT_Lm3ENS5_16DefaultPtrTraitsElEENS_6detail16IndexBoundsCheckILm4ElEESD_Lm4ESE_lEENS7_INS8_ISB_SC_Lm3ESE_lEESI_SC_Lm4ESE_lEE.has_dyn_sized_stack, 0
	.set _ZN2at6native12_GLOBAL__N_128upsample_bicubic2d_out_frameIddEEviT0_S3_bN5torch10headeronly6detail27GenericPackedTensorAccessorINS6_14TensorAccessorIN3c108ArrayRefIlEEKT_Lm3ENS5_16DefaultPtrTraitsElEENS_6detail16IndexBoundsCheckILm4ElEESD_Lm4ESE_lEENS7_INS8_ISB_SC_Lm3ESE_lEESI_SC_Lm4ESE_lEE.has_recursion, 0
	.set _ZN2at6native12_GLOBAL__N_128upsample_bicubic2d_out_frameIddEEviT0_S3_bN5torch10headeronly6detail27GenericPackedTensorAccessorINS6_14TensorAccessorIN3c108ArrayRefIlEEKT_Lm3ENS5_16DefaultPtrTraitsElEENS_6detail16IndexBoundsCheckILm4ElEESD_Lm4ESE_lEENS7_INS8_ISB_SC_Lm3ESE_lEESI_SC_Lm4ESE_lEE.has_indirect_call, 0
	.section	.AMDGPU.csdata,"",@progbits
; Kernel info:
; codeLenInByte = 2052
; TotalNumSgprs: 30
; NumVgprs: 82
; ScratchSize: 0
; MemoryBound: 0
; FloatMode: 240
; IeeeMode: 1
; LDSByteSize: 0 bytes/workgroup (compile time only)
; SGPRBlocks: 0
; VGPRBlocks: 5
; NumSGPRsForWavesPerEU: 30
; NumVGPRsForWavesPerEU: 82
; NamedBarCnt: 0
; Occupancy: 10
; WaveLimiterHint : 1
; COMPUTE_PGM_RSRC2:SCRATCH_EN: 0
; COMPUTE_PGM_RSRC2:USER_SGPR: 2
; COMPUTE_PGM_RSRC2:TRAP_HANDLER: 0
; COMPUTE_PGM_RSRC2:TGID_X_EN: 1
; COMPUTE_PGM_RSRC2:TGID_Y_EN: 0
; COMPUTE_PGM_RSRC2:TGID_Z_EN: 0
; COMPUTE_PGM_RSRC2:TIDIG_COMP_CNT: 0
	.section	.text._ZN2at6native12_GLOBAL__N_137upsample_bicubic2d_out_frame_parallelIffEEviT0_S3_bN5torch10headeronly6detail27GenericPackedTensorAccessorINS6_14TensorAccessorIN3c108ArrayRefIlEEKT_Lm3ENS5_16DefaultPtrTraitsElEENS_6detail16IndexBoundsCheckILm4ElEESD_Lm4ESE_lEENS7_INS8_ISB_SC_Lm3ESE_lEESI_SC_Lm4ESE_lEE,"axG",@progbits,_ZN2at6native12_GLOBAL__N_137upsample_bicubic2d_out_frame_parallelIffEEviT0_S3_bN5torch10headeronly6detail27GenericPackedTensorAccessorINS6_14TensorAccessorIN3c108ArrayRefIlEEKT_Lm3ENS5_16DefaultPtrTraitsElEENS_6detail16IndexBoundsCheckILm4ElEESD_Lm4ESE_lEENS7_INS8_ISB_SC_Lm3ESE_lEESI_SC_Lm4ESE_lEE,comdat
	.globl	_ZN2at6native12_GLOBAL__N_137upsample_bicubic2d_out_frame_parallelIffEEviT0_S3_bN5torch10headeronly6detail27GenericPackedTensorAccessorINS6_14TensorAccessorIN3c108ArrayRefIlEEKT_Lm3ENS5_16DefaultPtrTraitsElEENS_6detail16IndexBoundsCheckILm4ElEESD_Lm4ESE_lEENS7_INS8_ISB_SC_Lm3ESE_lEESI_SC_Lm4ESE_lEE ; -- Begin function _ZN2at6native12_GLOBAL__N_137upsample_bicubic2d_out_frame_parallelIffEEviT0_S3_bN5torch10headeronly6detail27GenericPackedTensorAccessorINS6_14TensorAccessorIN3c108ArrayRefIlEEKT_Lm3ENS5_16DefaultPtrTraitsElEENS_6detail16IndexBoundsCheckILm4ElEESD_Lm4ESE_lEENS7_INS8_ISB_SC_Lm3ESE_lEESI_SC_Lm4ESE_lEE
	.p2align	8
	.type	_ZN2at6native12_GLOBAL__N_137upsample_bicubic2d_out_frame_parallelIffEEviT0_S3_bN5torch10headeronly6detail27GenericPackedTensorAccessorINS6_14TensorAccessorIN3c108ArrayRefIlEEKT_Lm3ENS5_16DefaultPtrTraitsElEENS_6detail16IndexBoundsCheckILm4ElEESD_Lm4ESE_lEENS7_INS8_ISB_SC_Lm3ESE_lEESI_SC_Lm4ESE_lEE,@function
_ZN2at6native12_GLOBAL__N_137upsample_bicubic2d_out_frame_parallelIffEEviT0_S3_bN5torch10headeronly6detail27GenericPackedTensorAccessorINS6_14TensorAccessorIN3c108ArrayRefIlEEKT_Lm3ENS5_16DefaultPtrTraitsElEENS_6detail16IndexBoundsCheckILm4ElEESD_Lm4ESE_lEENS7_INS8_ISB_SC_Lm3ESE_lEESI_SC_Lm4ESE_lEE: ; @_ZN2at6native12_GLOBAL__N_137upsample_bicubic2d_out_frame_parallelIffEEviT0_S3_bN5torch10headeronly6detail27GenericPackedTensorAccessorINS6_14TensorAccessorIN3c108ArrayRefIlEEKT_Lm3ENS5_16DefaultPtrTraitsElEENS_6detail16IndexBoundsCheckILm4ElEESD_Lm4ESE_lEENS7_INS8_ISB_SC_Lm3ESE_lEESI_SC_Lm4ESE_lEE
; %bb.0:
	s_clause 0x1
	s_load_b32 s3, s[0:1], 0xac
	s_load_b128 s[4:7], s[0:1], 0x0
	s_bfe_u32 s2, ttmp6, 0x4000c
	s_and_b32 s8, ttmp6, 15
	s_add_co_i32 s9, s2, 1
	s_getreg_b32 s2, hwreg(HW_REG_IB_STS2, 6, 4)
	s_mul_i32 s9, ttmp9, s9
	s_delay_alu instid0(SALU_CYCLE_1) | instskip(SKIP_4) | instid1(SALU_CYCLE_1)
	s_add_co_i32 s8, s8, s9
	s_wait_kmcnt 0x0
	s_and_b32 s3, s3, 0xffff
	s_cmp_eq_u32 s2, 0
	s_cselect_b32 s8, ttmp9, s8
	v_mad_u32 v1, s8, s3, v0
	s_mov_b32 s3, exec_lo
	s_delay_alu instid0(VALU_DEP_1)
	v_cmpx_gt_i32_e64 s4, v1
	s_cbranch_execz .LBB2_10
; %bb.1:
	s_clause 0x2
	s_load_b128 s[8:11], s[0:1], 0x70
	s_load_b128 s[20:23], s[0:1], 0x20
	s_load_b32 s31, s[0:1], 0x30
	s_add_nc_u64 s[24:25], s[0:1], 0xa0
	s_wait_kmcnt 0x0
	s_abs_i32 s3, s10
	s_delay_alu instid0(SALU_CYCLE_1) | instskip(SKIP_1) | instid1(SALU_CYCLE_2)
	s_cvt_f32_u32 s4, s3
	s_sub_co_i32 s9, 0, s3
	v_rcp_iflag_f32_e32 v0, s4
	v_nop
	s_delay_alu instid0(TRANS32_DEP_1) | instskip(SKIP_2) | instid1(VALU_DEP_1)
	v_readfirstlane_b32 s4, v0
	v_sub_nc_u32_e32 v0, 0, v1
	s_mul_f32 s4, s4, 0x4f7ffffe
	v_max_i32_e32 v0, v1, v0
	s_delay_alu instid0(SALU_CYCLE_2) | instskip(NEXT) | instid1(SALU_CYCLE_3)
	s_cvt_u32_f32 s4, s4
	s_mul_i32 s9, s9, s4
	s_delay_alu instid0(SALU_CYCLE_1) | instskip(NEXT) | instid1(SALU_CYCLE_1)
	s_mul_hi_u32 s9, s4, s9
	s_add_co_i32 s4, s4, s9
	s_cmp_lg_u32 s22, s8
	v_mul_hi_u32 v2, v0, s4
	s_load_b32 s4, s[0:1], 0x18
	s_delay_alu instid0(VALU_DEP_1) | instskip(SKIP_2) | instid1(VALU_DEP_1)
	v_mul_lo_u32 v3, v2, s3
	s_wait_kmcnt 0x0
	s_mul_i32 s21, s20, s4
	v_dual_sub_nc_u32 v0, v0, v3 :: v_dual_add_nc_u32 v3, 1, v2
	s_delay_alu instid0(VALU_DEP_1) | instskip(NEXT) | instid1(VALU_DEP_2)
	v_cmp_le_u32_e32 vcc_lo, s3, v0
	v_dual_cndmask_b32 v2, v2, v3, vcc_lo :: v_dual_bitop2_b32 v3, s10, v1 bitop3:0x14
	v_subrev_nc_u32_e32 v4, s3, v0
	s_delay_alu instid0(VALU_DEP_1) | instskip(NEXT) | instid1(VALU_DEP_1)
	v_dual_cndmask_b32 v0, v0, v4, vcc_lo :: v_dual_add_nc_u32 v4, 1, v2
	v_cmp_le_u32_e32 vcc_lo, s3, v0
	s_delay_alu instid0(VALU_DEP_4)
	v_ashrrev_i32_e32 v3, 31, v3
	s_cselect_b32 s3, -1, 0
	s_cmp_lg_u32 s31, s10
	v_cndmask_b32_e32 v0, v2, v4, vcc_lo
	s_cselect_b32 s8, -1, 0
	s_bfe_u32 s11, ttmp6, 0x40014
	s_lshr_b32 s9, ttmp7, 16
	s_add_co_i32 s11, s11, 1
	v_xor_b32_e32 v0, v0, v3
	s_bfe_u32 s12, ttmp6, 0x40008
	s_mul_i32 s11, s9, s11
	s_or_b32 s3, s8, s3
	s_add_co_i32 s12, s12, s11
	v_sub_nc_u32_e32 v0, v0, v3
	s_cmp_eq_u32 s2, 0
	s_cselect_b32 s23, s9, s12
	s_delay_alu instid0(VALU_DEP_1)
	v_mul_lo_u32 v2, v0, s10
	s_cmp_lt_i32 s23, s21
	s_cselect_b32 s30, -1, 0
	s_and_b32 vcc_lo, exec_lo, s3
	v_cndmask_b32_e64 v3, 0, 1, s30
	s_mov_b32 s3, -1
	s_delay_alu instid0(VALU_DEP_1) | instskip(NEXT) | instid1(VALU_DEP_3)
	v_cmp_ne_u32_e64 s2, 1, v3
	v_sub_nc_u32_e32 v2, v1, v2
	s_cbranch_vccz .LBB2_6
; %bb.2:
	s_and_b32 vcc_lo, exec_lo, s2
	s_cbranch_vccnz .LBB2_5
; %bb.3:
	v_cvt_f32_i32_e32 v1, v0
	v_cvt_f32_i32_e32 v3, v2
	s_bitcmp1_b32 s7, 0
	s_load_b256 s[12:19], s[0:1], 0x80
	s_cselect_b32 vcc_lo, -1, 0
	s_delay_alu instid0(VALU_DEP_1) | instskip(SKIP_2) | instid1(VALU_DEP_2)
	v_dual_add_f32 v4, 0.5, v1 :: v_dual_add_f32 v5, 0.5, v3
	v_dual_mul_f32 v1, s5, v1 :: v_dual_mul_f32 v3, s6, v3
	s_add_co_i32 s31, s31, -1
	v_fma_f32 v4, s5, v4, -0.5
	s_delay_alu instid0(VALU_DEP_3) | instskip(SKIP_3) | instid1(VALU_DEP_1)
	v_fma_f32 v5, s6, v5, -0.5
	s_load_b256 s[4:11], s[0:1], 0x38
	s_add_co_i32 s34, s22, -1
	s_mov_b32 s2, 0xbf400000
	v_dual_cndmask_b32 v4, v4, v1 :: v_dual_cndmask_b32 v5, v5, v3
	s_mov_b32 s33, 0x3fa00000
	s_abs_i32 s22, s20
	s_clause 0x1
	s_load_b64 s[26:27], s[0:1], 0x10
	s_load_b64 s[28:29], s[0:1], 0x58
	v_floor_f32_e32 v8, v4
	v_floor_f32_e32 v1, v5
	v_mov_b64_e32 v[40:41], 0x404000003f800000
	v_mov_b64_e32 v[42:43], 0x3f80000040400000
	s_mov_b32 s3, 0
	v_ashrrev_i32_e32 v3, 31, v2
	v_cvt_i32_f32_e32 v6, v1
	v_dual_mov_b32 v19, 0 :: v_dual_ashrrev_i32 v1, 31, v0
	s_wait_kmcnt 0x0
	s_delay_alu instid0(VALU_DEP_3) | instskip(NEXT) | instid1(VALU_DEP_3)
	v_mul_u64_e32 v[16:17], s[18:19], v[2:3]
	v_add_nc_u32_e32 v7, -1, v6
	s_load_b32 s18, s[24:25], 0x8
	s_ashr_i32 s19, s20, 31
	s_delay_alu instid0(VALU_DEP_1) | instskip(SKIP_3) | instid1(VALU_DEP_4)
	v_minmax_i32 v18, v7, s31, 0
	v_cvt_i32_f32_e32 v7, v8
	v_cvt_f32_i32_e32 v8, v6
	v_add_nc_u32_e32 v9, 1, v6
	v_mul_u64_e32 v[26:27], s[10:11], v[18:19]
	v_minmax_i32 v18, v6, s31, 0
	s_delay_alu instid0(VALU_DEP_4) | instskip(SKIP_2) | instid1(VALU_DEP_4)
	v_dual_add_nc_u32 v11, -1, v7 :: v_dual_sub_f32 v23, v5, v8
	v_add_nc_u32_e32 v5, 2, v6
	v_cvt_f32_i32_e32 v10, v7
	v_mul_u64_e32 v[28:29], s[10:11], v[18:19]
	v_minmax_i32 v18, v9, s31, 0
	v_dual_sub_f32 v12, 1.0, v23 :: v_dual_add_f32 v24, 1.0, v23
	s_delay_alu instid0(VALU_DEP_4) | instskip(SKIP_1) | instid1(VALU_DEP_4)
	v_dual_sub_f32 v20, v4, v10 :: v_dual_add_nc_u32 v8, 1, v7
	v_add_nc_u32_e32 v9, 2, v7
	v_mul_u64_e32 v[30:31], s[10:11], v[18:19]
	v_minmax_i32 v18, v5, s31, 0
	v_add_f32_e32 v10, 1.0, v12
	v_dual_fmaak_f32 v6, s33, v23, 0xc0100000 :: v_dual_add_f32 v35, 1.0, v20
	v_sub_f32_e32 v36, 1.0, v20
	s_delay_alu instid0(VALU_DEP_4)
	v_mul_u64_e32 v[32:33], s[10:11], v[18:19]
	v_minmax_i32 v18, v11, s34, 0
	v_dual_fmaak_f32 v13, s2, v10, 0x40700000 :: v_dual_fmaak_f32 v14, s2, v24, 0x40700000
	v_mul_f32_e32 v25, v23, v6
	v_fmaak_f32 v3, s33, v20, 0xc0100000
	v_fmaak_f32 v11, s33, v12, 0xc0100000
	v_mul_u64_e32 v[4:5], s[8:9], v[18:19]
	v_minmax_i32 v18, v7, s34, 0
	v_dual_fmaak_f32 v13, v10, v13, 0xc0c00000 :: v_dual_fmaak_f32 v22, v24, v14, 0xc0c00000
	v_mul_f32_e32 v34, v20, v3
	v_mul_f32_e32 v11, v12, v11
	s_delay_alu instid0(VALU_DEP_4)
	v_mul_u64_e32 v[6:7], s[8:9], v[18:19]
	v_minmax_i32 v18, v8, s34, 0
	v_fmaak_f32 v10, v10, v13, 0x40400000
	v_mul_u64_e32 v[14:15], s[16:17], v[0:1]
	v_fma_f32 v8, v12, v11, 1.0
	s_cvt_f32_u32 s10, s22
	v_mul_u64_e32 v[12:13], s[8:9], v[18:19]
	v_minmax_i32 v18, v9, s34, 0
	v_add_f32_e32 v39, 1.0, v36
	v_rcp_iflag_f32_e32 v1, s10
	v_fmaak_f32 v9, s33, v36, 0xc0100000
	v_fmaak_f32 v21, s2, v35, 0x40700000
	v_mul_u64_e32 v[18:19], s[8:9], v[18:19]
	v_fmaak_f32 v11, s2, v39, 0x40700000
	s_sub_co_i32 s8, 0, s22
	v_mul_f32_e32 v38, v36, v9
	v_readfirstlane_b32 s2, v1
	v_fmaak_f32 v21, v35, v21, 0xc0c00000
	v_fmaak_f32 v37, v39, v11, 0xc0c00000
	v_lshlrev_b64_e32 v[26:27], 2, v[26:27]
	v_lshlrev_b64_e32 v[28:29], 2, v[28:29]
	s_mul_f32 s2, s2, 0x4f7ffffe
	v_lshlrev_b64_e32 v[30:31], 2, v[30:31]
	v_lshlrev_b64_e32 v[32:33], 2, v[32:33]
	v_pk_fma_f32 v[20:21], v[20:21], v[34:35], v[40:41]
	s_cvt_u32_f32 s2, s2
	v_pk_fma_f32 v[22:23], v[22:23], v[24:25], v[42:43]
	v_mov_b32_e32 v11, v10
	v_pk_fma_f32 v[24:25], v[38:39], v[36:37], v[40:41]
	s_mul_i32 s8, s8, s2
	v_mov_b32_e32 v9, v8
	s_mul_hi_u32 s8, s2, s8
	s_mov_b32 s9, s3
	s_add_co_i32 s8, s2, s8
	s_sub_co_i32 s31, 0, s20
	s_mov_b32 s33, s23
.LBB2_4:                                ; =>This Inner Loop Header: Depth=1
	s_delay_alu instid0(SALU_CYCLE_1)
	s_abs_i32 s2, s33
	s_ashr_i32 s16, s33, 31
	s_mul_u64 s[10:11], s[2:3], s[8:9]
	s_xor_b32 s10, s16, s19
	s_mul_i32 s16, s11, s22
	s_add_co_i32 s17, s11, 1
	s_sub_co_i32 s2, s2, s16
	s_delay_alu instid0(SALU_CYCLE_1)
	s_sub_co_i32 s16, s2, s22
	s_cmp_ge_u32 s2, s22
	s_cselect_b32 s11, s17, s11
	s_cselect_b32 s2, s16, s2
	s_add_co_i32 s16, s11, 1
	s_cmp_ge_u32 s2, s22
	s_cselect_b32 s2, s16, s11
	s_delay_alu instid0(SALU_CYCLE_1) | instskip(NEXT) | instid1(SALU_CYCLE_1)
	s_xor_b32 s2, s2, s10
	s_sub_co_i32 s16, s2, s10
	s_delay_alu instid0(SALU_CYCLE_1)
	s_mul_i32 s2, s31, s16
	s_ashr_i32 s17, s16, 31
	s_add_co_i32 s10, s33, s2
	s_mul_u64 s[34:35], s[4:5], s[16:17]
	s_ashr_i32 s11, s10, 31
	s_lshl_b64 s[34:35], s[34:35], 2
	s_mul_u64 s[36:37], s[6:7], s[10:11]
	s_add_nc_u64 s[34:35], s[26:27], s[34:35]
	s_lshl_b64 s[36:37], s[36:37], 2
	s_mul_u64 s[16:17], s[12:13], s[16:17]
	s_add_nc_u64 s[34:35], s[34:35], s[36:37]
	s_lshl_b64 s[16:17], s[16:17], 2
	v_lshl_add_u64 v[34:35], v[4:5], 2, s[34:35]
	s_wait_xcnt 0x0
	v_lshl_add_u64 v[40:41], v[18:19], 2, s[34:35]
	s_wait_xcnt 0x0
	v_lshl_add_u64 v[36:37], v[6:7], 2, s[34:35]
	v_lshl_add_u64 v[38:39], v[12:13], 2, s[34:35]
	s_mul_u64 s[10:11], s[14:15], s[10:11]
	v_add_nc_u64_e32 v[42:43], v[34:35], v[26:27]
	v_add_nc_u64_e32 v[44:45], v[34:35], v[28:29]
	;; [unrolled: 1-line block ×13, first 2 shown]
	s_clause 0xa
	global_load_b32 v64, v[42:43], off
	global_load_b32 v67, v[44:45], off
	; meta instruction
	; meta instruction
	global_load_b32 v43, v[46:47], off
	global_load_b32 v45, v[34:35], off
	;; [unrolled: 1-line block ×4, first 2 shown]
	; meta instruction
	; meta instruction
	;; [unrolled: 1-line block ×4, first 2 shown]
	global_load_b32 v34, v[54:55], off
	global_load_b32 v47, v[56:57], off
	;; [unrolled: 1-line block ×5, first 2 shown]
	s_wait_xcnt 0x0
	v_add_nc_u64_e32 v[38:39], v[40:41], v[30:31]
	v_add_nc_u64_e32 v[36:37], v[36:37], v[32:33]
	s_clause 0x1
	global_load_b32 v35, v[62:63], off
	global_load_b32 v42, v[52:53], off
	v_add_nc_u64_e32 v[40:41], v[40:41], v[32:33]
	s_clause 0x2
	global_load_b32 v49, v[38:39], off
	global_load_b32 v44, v[36:37], off
	;; [unrolled: 1-line block ×3, first 2 shown]
	s_add_nc_u64 s[16:17], s[28:29], s[16:17]
	s_lshl_b64 s[10:11], s[10:11], 2
	s_wait_kmcnt 0x0
	s_add_co_i32 s33, s33, s18
	s_add_nc_u64 s[10:11], s[16:17], s[10:11]
	s_cmp_lt_i32 s33, s21
	s_wait_loadcnt 0xb
	s_wait_xcnt 0x1
	v_pk_mul_f32 v[36:37], v[22:23], v[64:65]
	s_wait_loadcnt 0xa
	s_delay_alu instid0(VALU_DEP_1) | instskip(SKIP_3) | instid1(VALU_DEP_1)
	v_pk_fma_f32 v[36:37], v[22:23], v[66:67], v[36:37] op_sel:[0,0,1] op_sel_hi:[1,1,0]
	s_wait_loadcnt 0x7
	v_pk_mul_f32 v[38:39], v[22:23], v[46:47]
	s_wait_loadcnt 0x4
	v_pk_fma_f32 v[34:35], v[22:23], v[34:35], v[38:39] op_sel:[0,0,1] op_sel_hi:[1,1,0]
	s_wait_loadcnt 0x3
	v_pk_fma_f32 v[36:37], v[8:9], v[42:43], v[36:37]
	s_wait_loadcnt 0x2
	s_delay_alu instid0(VALU_DEP_2) | instskip(SKIP_1) | instid1(VALU_DEP_2)
	v_pk_fma_f32 v[34:35], v[8:9], v[48:49], v[34:35]
	s_wait_loadcnt 0x1
	v_pk_fma_f32 v[36:37], v[10:11], v[44:45], v[36:37]
	s_wait_loadcnt 0x0
	s_delay_alu instid0(VALU_DEP_2) | instskip(NEXT) | instid1(VALU_DEP_2)
	v_pk_fma_f32 v[34:35], v[10:11], v[50:51], v[34:35]
	v_pk_mul_f32 v[36:37], v[20:21], v[36:37]
	s_delay_alu instid0(VALU_DEP_2) | instskip(NEXT) | instid1(VALU_DEP_2)
	v_pk_mul_f32 v[34:35], v[24:25], v[34:35]
	v_add_f32_e32 v1, v36, v37
	v_lshl_add_u64 v[36:37], v[14:15], 2, s[10:11]
	s_delay_alu instid0(VALU_DEP_2) | instskip(NEXT) | instid1(VALU_DEP_2)
	v_add_f32_e32 v1, v34, v1
	v_lshl_add_u64 v[36:37], v[16:17], 2, v[36:37]
	s_delay_alu instid0(VALU_DEP_2)
	v_add_f32_e32 v1, v35, v1
	global_store_b32 v[36:37], v1, off
	s_cbranch_scc1 .LBB2_4
.LBB2_5:
	s_mov_b32 s3, 0
.LBB2_6:
	s_delay_alu instid0(SALU_CYCLE_1)
	s_and_not1_b32 vcc_lo, exec_lo, s3
	s_cbranch_vccnz .LBB2_10
; %bb.7:
	s_and_not1_b32 vcc_lo, exec_lo, s30
	s_cbranch_vccnz .LBB2_10
; %bb.8:
	s_clause 0x1
	s_load_b256 s[4:11], s[0:1], 0x38
	s_load_b256 s[12:19], s[0:1], 0x80
	v_dual_ashrrev_i32 v1, 31, v0 :: v_dual_ashrrev_i32 v3, 31, v2
	s_abs_i32 s22, s20
	s_delay_alu instid0(SALU_CYCLE_1) | instskip(NEXT) | instid1(SALU_CYCLE_3)
	s_cvt_f32_u32 s2, s22
	v_rcp_iflag_f32_e32 v8, s2
	s_wait_kmcnt 0x0
	v_mul_u64_e32 v[4:5], s[8:9], v[0:1]
	v_mul_u64_e32 v[6:7], s[10:11], v[2:3]
	;; [unrolled: 1-line block ×4, first 2 shown]
	s_clause 0x1
	s_load_b64 s[2:3], s[0:1], 0x10
	s_load_b64 s[8:9], s[0:1], 0x58
	s_load_b32 s16, s[24:25], 0x8
	s_wait_xcnt 0x0
	v_readfirstlane_b32 s0, v8
	s_sub_co_i32 s1, 0, s22
	s_ashr_i32 s17, s20, 31
	s_sub_co_i32 s18, 0, s20
	s_mul_f32 s0, s0, 0x4f7ffffe
	s_delay_alu instid0(SALU_CYCLE_3) | instskip(NEXT) | instid1(SALU_CYCLE_3)
	s_cvt_u32_f32 s0, s0
	s_mul_i32 s1, s1, s0
	s_delay_alu instid0(SALU_CYCLE_1)
	s_mul_hi_u32 s10, s0, s1
	s_mov_b32 s1, 0
	s_add_co_i32 s10, s0, s10
	s_mov_b32 s11, s1
.LBB2_9:                                ; =>This Inner Loop Header: Depth=1
	s_abs_i32 s0, s23
	s_ashr_i32 s19, s23, 31
	s_mul_u64 s[24:25], s[0:1], s[10:11]
	s_xor_b32 s19, s19, s17
	s_mul_i32 s20, s25, s22
	s_delay_alu instid0(SALU_CYCLE_1)
	s_sub_co_i32 s0, s0, s20
	s_add_co_i32 s20, s25, 1
	s_sub_co_i32 s24, s0, s22
	s_cmp_ge_u32 s0, s22
	s_cselect_b32 s20, s20, s25
	s_cselect_b32 s0, s24, s0
	s_add_co_i32 s24, s20, 1
	s_cmp_ge_u32 s0, s22
	s_cselect_b32 s0, s24, s20
	s_delay_alu instid0(SALU_CYCLE_1) | instskip(NEXT) | instid1(SALU_CYCLE_1)
	s_xor_b32 s0, s0, s19
	s_sub_co_i32 s24, s0, s19
	s_delay_alu instid0(SALU_CYCLE_1)
	s_mul_i32 s0, s18, s24
	s_ashr_i32 s25, s24, 31
	s_add_co_i32 s26, s23, s0
	s_mul_u64 s[28:29], s[4:5], s[24:25]
	s_ashr_i32 s27, s26, 31
	s_lshl_b64 s[28:29], s[28:29], 2
	s_mul_u64 s[30:31], s[6:7], s[26:27]
	s_wait_kmcnt 0x0
	s_add_nc_u64 s[28:29], s[2:3], s[28:29]
	s_lshl_b64 s[30:31], s[30:31], 2
	s_mul_u64 s[24:25], s[12:13], s[24:25]
	s_add_nc_u64 s[28:29], s[28:29], s[30:31]
	s_lshl_b64 s[24:25], s[24:25], 2
	s_wait_xcnt 0x0
	v_lshl_add_u64 v[8:9], v[4:5], 2, s[28:29]
	s_mul_u64 s[26:27], s[14:15], s[26:27]
	s_add_nc_u64 s[24:25], s[8:9], s[24:25]
	s_lshl_b64 s[26:27], s[26:27], 2
	s_add_co_i32 s23, s23, s16
	v_lshl_add_u64 v[8:9], v[6:7], 2, v[8:9]
	s_add_nc_u64 s[24:25], s[24:25], s[26:27]
	s_cmp_ge_i32 s23, s21
	global_load_b32 v10, v[8:9], off
	s_wait_xcnt 0x0
	v_lshl_add_u64 v[8:9], v[0:1], 2, s[24:25]
	s_delay_alu instid0(VALU_DEP_1)
	v_lshl_add_u64 v[8:9], v[2:3], 2, v[8:9]
	s_wait_loadcnt 0x0
	global_store_b32 v[8:9], v10, off
	s_cbranch_scc0 .LBB2_9
.LBB2_10:
	s_sendmsg sendmsg(MSG_DEALLOC_VGPRS)
	s_endpgm
	.section	.rodata,"a",@progbits
	.p2align	6, 0x0
	.amdhsa_kernel _ZN2at6native12_GLOBAL__N_137upsample_bicubic2d_out_frame_parallelIffEEviT0_S3_bN5torch10headeronly6detail27GenericPackedTensorAccessorINS6_14TensorAccessorIN3c108ArrayRefIlEEKT_Lm3ENS5_16DefaultPtrTraitsElEENS_6detail16IndexBoundsCheckILm4ElEESD_Lm4ESE_lEENS7_INS8_ISB_SC_Lm3ESE_lEESI_SC_Lm4ESE_lEE
		.amdhsa_group_segment_fixed_size 0
		.amdhsa_private_segment_fixed_size 0
		.amdhsa_kernarg_size 416
		.amdhsa_user_sgpr_count 2
		.amdhsa_user_sgpr_dispatch_ptr 0
		.amdhsa_user_sgpr_queue_ptr 0
		.amdhsa_user_sgpr_kernarg_segment_ptr 1
		.amdhsa_user_sgpr_dispatch_id 0
		.amdhsa_user_sgpr_kernarg_preload_length 0
		.amdhsa_user_sgpr_kernarg_preload_offset 0
		.amdhsa_user_sgpr_private_segment_size 0
		.amdhsa_wavefront_size32 1
		.amdhsa_uses_dynamic_stack 0
		.amdhsa_enable_private_segment 0
		.amdhsa_system_sgpr_workgroup_id_x 1
		.amdhsa_system_sgpr_workgroup_id_y 0
		.amdhsa_system_sgpr_workgroup_id_z 1
		.amdhsa_system_sgpr_workgroup_info 0
		.amdhsa_system_vgpr_workitem_id 0
		.amdhsa_next_free_vgpr 68
		.amdhsa_next_free_sgpr 38
		.amdhsa_named_barrier_count 0
		.amdhsa_reserve_vcc 1
		.amdhsa_float_round_mode_32 0
		.amdhsa_float_round_mode_16_64 0
		.amdhsa_float_denorm_mode_32 3
		.amdhsa_float_denorm_mode_16_64 3
		.amdhsa_fp16_overflow 0
		.amdhsa_memory_ordered 1
		.amdhsa_forward_progress 1
		.amdhsa_inst_pref_size 17
		.amdhsa_round_robin_scheduling 0
		.amdhsa_exception_fp_ieee_invalid_op 0
		.amdhsa_exception_fp_denorm_src 0
		.amdhsa_exception_fp_ieee_div_zero 0
		.amdhsa_exception_fp_ieee_overflow 0
		.amdhsa_exception_fp_ieee_underflow 0
		.amdhsa_exception_fp_ieee_inexact 0
		.amdhsa_exception_int_div_zero 0
	.end_amdhsa_kernel
	.section	.text._ZN2at6native12_GLOBAL__N_137upsample_bicubic2d_out_frame_parallelIffEEviT0_S3_bN5torch10headeronly6detail27GenericPackedTensorAccessorINS6_14TensorAccessorIN3c108ArrayRefIlEEKT_Lm3ENS5_16DefaultPtrTraitsElEENS_6detail16IndexBoundsCheckILm4ElEESD_Lm4ESE_lEENS7_INS8_ISB_SC_Lm3ESE_lEESI_SC_Lm4ESE_lEE,"axG",@progbits,_ZN2at6native12_GLOBAL__N_137upsample_bicubic2d_out_frame_parallelIffEEviT0_S3_bN5torch10headeronly6detail27GenericPackedTensorAccessorINS6_14TensorAccessorIN3c108ArrayRefIlEEKT_Lm3ENS5_16DefaultPtrTraitsElEENS_6detail16IndexBoundsCheckILm4ElEESD_Lm4ESE_lEENS7_INS8_ISB_SC_Lm3ESE_lEESI_SC_Lm4ESE_lEE,comdat
.Lfunc_end2:
	.size	_ZN2at6native12_GLOBAL__N_137upsample_bicubic2d_out_frame_parallelIffEEviT0_S3_bN5torch10headeronly6detail27GenericPackedTensorAccessorINS6_14TensorAccessorIN3c108ArrayRefIlEEKT_Lm3ENS5_16DefaultPtrTraitsElEENS_6detail16IndexBoundsCheckILm4ElEESD_Lm4ESE_lEENS7_INS8_ISB_SC_Lm3ESE_lEESI_SC_Lm4ESE_lEE, .Lfunc_end2-_ZN2at6native12_GLOBAL__N_137upsample_bicubic2d_out_frame_parallelIffEEviT0_S3_bN5torch10headeronly6detail27GenericPackedTensorAccessorINS6_14TensorAccessorIN3c108ArrayRefIlEEKT_Lm3ENS5_16DefaultPtrTraitsElEENS_6detail16IndexBoundsCheckILm4ElEESD_Lm4ESE_lEENS7_INS8_ISB_SC_Lm3ESE_lEESI_SC_Lm4ESE_lEE
                                        ; -- End function
	.set _ZN2at6native12_GLOBAL__N_137upsample_bicubic2d_out_frame_parallelIffEEviT0_S3_bN5torch10headeronly6detail27GenericPackedTensorAccessorINS6_14TensorAccessorIN3c108ArrayRefIlEEKT_Lm3ENS5_16DefaultPtrTraitsElEENS_6detail16IndexBoundsCheckILm4ElEESD_Lm4ESE_lEENS7_INS8_ISB_SC_Lm3ESE_lEESI_SC_Lm4ESE_lEE.num_vgpr, 68
	.set _ZN2at6native12_GLOBAL__N_137upsample_bicubic2d_out_frame_parallelIffEEviT0_S3_bN5torch10headeronly6detail27GenericPackedTensorAccessorINS6_14TensorAccessorIN3c108ArrayRefIlEEKT_Lm3ENS5_16DefaultPtrTraitsElEENS_6detail16IndexBoundsCheckILm4ElEESD_Lm4ESE_lEENS7_INS8_ISB_SC_Lm3ESE_lEESI_SC_Lm4ESE_lEE.num_agpr, 0
	.set _ZN2at6native12_GLOBAL__N_137upsample_bicubic2d_out_frame_parallelIffEEviT0_S3_bN5torch10headeronly6detail27GenericPackedTensorAccessorINS6_14TensorAccessorIN3c108ArrayRefIlEEKT_Lm3ENS5_16DefaultPtrTraitsElEENS_6detail16IndexBoundsCheckILm4ElEESD_Lm4ESE_lEENS7_INS8_ISB_SC_Lm3ESE_lEESI_SC_Lm4ESE_lEE.numbered_sgpr, 38
	.set _ZN2at6native12_GLOBAL__N_137upsample_bicubic2d_out_frame_parallelIffEEviT0_S3_bN5torch10headeronly6detail27GenericPackedTensorAccessorINS6_14TensorAccessorIN3c108ArrayRefIlEEKT_Lm3ENS5_16DefaultPtrTraitsElEENS_6detail16IndexBoundsCheckILm4ElEESD_Lm4ESE_lEENS7_INS8_ISB_SC_Lm3ESE_lEESI_SC_Lm4ESE_lEE.num_named_barrier, 0
	.set _ZN2at6native12_GLOBAL__N_137upsample_bicubic2d_out_frame_parallelIffEEviT0_S3_bN5torch10headeronly6detail27GenericPackedTensorAccessorINS6_14TensorAccessorIN3c108ArrayRefIlEEKT_Lm3ENS5_16DefaultPtrTraitsElEENS_6detail16IndexBoundsCheckILm4ElEESD_Lm4ESE_lEENS7_INS8_ISB_SC_Lm3ESE_lEESI_SC_Lm4ESE_lEE.private_seg_size, 0
	.set _ZN2at6native12_GLOBAL__N_137upsample_bicubic2d_out_frame_parallelIffEEviT0_S3_bN5torch10headeronly6detail27GenericPackedTensorAccessorINS6_14TensorAccessorIN3c108ArrayRefIlEEKT_Lm3ENS5_16DefaultPtrTraitsElEENS_6detail16IndexBoundsCheckILm4ElEESD_Lm4ESE_lEENS7_INS8_ISB_SC_Lm3ESE_lEESI_SC_Lm4ESE_lEE.uses_vcc, 1
	.set _ZN2at6native12_GLOBAL__N_137upsample_bicubic2d_out_frame_parallelIffEEviT0_S3_bN5torch10headeronly6detail27GenericPackedTensorAccessorINS6_14TensorAccessorIN3c108ArrayRefIlEEKT_Lm3ENS5_16DefaultPtrTraitsElEENS_6detail16IndexBoundsCheckILm4ElEESD_Lm4ESE_lEENS7_INS8_ISB_SC_Lm3ESE_lEESI_SC_Lm4ESE_lEE.uses_flat_scratch, 0
	.set _ZN2at6native12_GLOBAL__N_137upsample_bicubic2d_out_frame_parallelIffEEviT0_S3_bN5torch10headeronly6detail27GenericPackedTensorAccessorINS6_14TensorAccessorIN3c108ArrayRefIlEEKT_Lm3ENS5_16DefaultPtrTraitsElEENS_6detail16IndexBoundsCheckILm4ElEESD_Lm4ESE_lEENS7_INS8_ISB_SC_Lm3ESE_lEESI_SC_Lm4ESE_lEE.has_dyn_sized_stack, 0
	.set _ZN2at6native12_GLOBAL__N_137upsample_bicubic2d_out_frame_parallelIffEEviT0_S3_bN5torch10headeronly6detail27GenericPackedTensorAccessorINS6_14TensorAccessorIN3c108ArrayRefIlEEKT_Lm3ENS5_16DefaultPtrTraitsElEENS_6detail16IndexBoundsCheckILm4ElEESD_Lm4ESE_lEENS7_INS8_ISB_SC_Lm3ESE_lEESI_SC_Lm4ESE_lEE.has_recursion, 0
	.set _ZN2at6native12_GLOBAL__N_137upsample_bicubic2d_out_frame_parallelIffEEviT0_S3_bN5torch10headeronly6detail27GenericPackedTensorAccessorINS6_14TensorAccessorIN3c108ArrayRefIlEEKT_Lm3ENS5_16DefaultPtrTraitsElEENS_6detail16IndexBoundsCheckILm4ElEESD_Lm4ESE_lEENS7_INS8_ISB_SC_Lm3ESE_lEESI_SC_Lm4ESE_lEE.has_indirect_call, 0
	.section	.AMDGPU.csdata,"",@progbits
; Kernel info:
; codeLenInByte = 2148
; TotalNumSgprs: 40
; NumVgprs: 68
; ScratchSize: 0
; MemoryBound: 0
; FloatMode: 240
; IeeeMode: 1
; LDSByteSize: 0 bytes/workgroup (compile time only)
; SGPRBlocks: 0
; VGPRBlocks: 4
; NumSGPRsForWavesPerEU: 40
; NumVGPRsForWavesPerEU: 68
; NamedBarCnt: 0
; Occupancy: 12
; WaveLimiterHint : 1
; COMPUTE_PGM_RSRC2:SCRATCH_EN: 0
; COMPUTE_PGM_RSRC2:USER_SGPR: 2
; COMPUTE_PGM_RSRC2:TRAP_HANDLER: 0
; COMPUTE_PGM_RSRC2:TGID_X_EN: 1
; COMPUTE_PGM_RSRC2:TGID_Y_EN: 0
; COMPUTE_PGM_RSRC2:TGID_Z_EN: 1
; COMPUTE_PGM_RSRC2:TIDIG_COMP_CNT: 0
	.section	.text._ZN2at6native12_GLOBAL__N_128upsample_bicubic2d_out_frameIffEEviT0_S3_bN5torch10headeronly6detail27GenericPackedTensorAccessorINS6_14TensorAccessorIN3c108ArrayRefIlEEKT_Lm3ENS5_16DefaultPtrTraitsElEENS_6detail16IndexBoundsCheckILm4ElEESD_Lm4ESE_lEENS7_INS8_ISB_SC_Lm3ESE_lEESI_SC_Lm4ESE_lEE,"axG",@progbits,_ZN2at6native12_GLOBAL__N_128upsample_bicubic2d_out_frameIffEEviT0_S3_bN5torch10headeronly6detail27GenericPackedTensorAccessorINS6_14TensorAccessorIN3c108ArrayRefIlEEKT_Lm3ENS5_16DefaultPtrTraitsElEENS_6detail16IndexBoundsCheckILm4ElEESD_Lm4ESE_lEENS7_INS8_ISB_SC_Lm3ESE_lEESI_SC_Lm4ESE_lEE,comdat
	.globl	_ZN2at6native12_GLOBAL__N_128upsample_bicubic2d_out_frameIffEEviT0_S3_bN5torch10headeronly6detail27GenericPackedTensorAccessorINS6_14TensorAccessorIN3c108ArrayRefIlEEKT_Lm3ENS5_16DefaultPtrTraitsElEENS_6detail16IndexBoundsCheckILm4ElEESD_Lm4ESE_lEENS7_INS8_ISB_SC_Lm3ESE_lEESI_SC_Lm4ESE_lEE ; -- Begin function _ZN2at6native12_GLOBAL__N_128upsample_bicubic2d_out_frameIffEEviT0_S3_bN5torch10headeronly6detail27GenericPackedTensorAccessorINS6_14TensorAccessorIN3c108ArrayRefIlEEKT_Lm3ENS5_16DefaultPtrTraitsElEENS_6detail16IndexBoundsCheckILm4ElEESD_Lm4ESE_lEENS7_INS8_ISB_SC_Lm3ESE_lEESI_SC_Lm4ESE_lEE
	.p2align	8
	.type	_ZN2at6native12_GLOBAL__N_128upsample_bicubic2d_out_frameIffEEviT0_S3_bN5torch10headeronly6detail27GenericPackedTensorAccessorINS6_14TensorAccessorIN3c108ArrayRefIlEEKT_Lm3ENS5_16DefaultPtrTraitsElEENS_6detail16IndexBoundsCheckILm4ElEESD_Lm4ESE_lEENS7_INS8_ISB_SC_Lm3ESE_lEESI_SC_Lm4ESE_lEE,@function
_ZN2at6native12_GLOBAL__N_128upsample_bicubic2d_out_frameIffEEviT0_S3_bN5torch10headeronly6detail27GenericPackedTensorAccessorINS6_14TensorAccessorIN3c108ArrayRefIlEEKT_Lm3ENS5_16DefaultPtrTraitsElEENS_6detail16IndexBoundsCheckILm4ElEESD_Lm4ESE_lEENS7_INS8_ISB_SC_Lm3ESE_lEESI_SC_Lm4ESE_lEE: ; @_ZN2at6native12_GLOBAL__N_128upsample_bicubic2d_out_frameIffEEviT0_S3_bN5torch10headeronly6detail27GenericPackedTensorAccessorINS6_14TensorAccessorIN3c108ArrayRefIlEEKT_Lm3ENS5_16DefaultPtrTraitsElEENS_6detail16IndexBoundsCheckILm4ElEESD_Lm4ESE_lEENS7_INS8_ISB_SC_Lm3ESE_lEESI_SC_Lm4ESE_lEE
; %bb.0:
	s_clause 0x1
	s_load_b32 s2, s[0:1], 0xac
	s_load_b128 s[12:15], s[0:1], 0x0
	s_bfe_u32 s3, ttmp6, 0x4000c
	s_and_b32 s4, ttmp6, 15
	s_add_co_i32 s3, s3, 1
	s_getreg_b32 s5, hwreg(HW_REG_IB_STS2, 6, 4)
	s_mul_i32 s3, ttmp9, s3
	s_delay_alu instid0(SALU_CYCLE_1) | instskip(SKIP_4) | instid1(SALU_CYCLE_1)
	s_add_co_i32 s4, s4, s3
	s_wait_kmcnt 0x0
	s_and_b32 s2, s2, 0xffff
	s_cmp_eq_u32 s5, 0
	s_cselect_b32 s3, ttmp9, s4
	v_mad_u32 v1, s3, s2, v0
	s_mov_b32 s2, exec_lo
	s_delay_alu instid0(VALU_DEP_1)
	v_cmpx_gt_i32_e64 s12, v1
	s_cbranch_execz .LBB3_14
; %bb.1:
	s_load_b128 s[16:19], s[0:1], 0x70
	s_wait_kmcnt 0x0
	s_abs_i32 s2, s18
	s_delay_alu instid0(SALU_CYCLE_1) | instskip(SKIP_1) | instid1(SALU_CYCLE_2)
	s_cvt_f32_u32 s3, s2
	s_sub_co_i32 s4, 0, s2
	v_rcp_iflag_f32_e32 v0, s3
	v_nop
	s_delay_alu instid0(TRANS32_DEP_1) | instskip(SKIP_2) | instid1(VALU_DEP_1)
	v_readfirstlane_b32 s3, v0
	v_sub_nc_u32_e32 v0, 0, v1
	s_mul_f32 s3, s3, 0x4f7ffffe
	v_max_i32_e32 v0, v1, v0
	s_delay_alu instid0(SALU_CYCLE_2) | instskip(NEXT) | instid1(SALU_CYCLE_3)
	s_cvt_u32_f32 s3, s3
	s_mul_i32 s4, s4, s3
	s_delay_alu instid0(SALU_CYCLE_1) | instskip(NEXT) | instid1(SALU_CYCLE_1)
	s_mul_hi_u32 s4, s3, s4
	s_add_co_i32 s3, s3, s4
	s_load_b256 s[4:11], s[0:1], 0x18
	v_mul_hi_u32 v2, v0, s3
	s_delay_alu instid0(VALU_DEP_1) | instskip(SKIP_2) | instid1(VALU_DEP_1)
	v_mul_lo_u32 v3, v2, s2
	s_wait_kmcnt 0x0
	s_cmp_lg_u32 s8, s16
	v_dual_sub_nc_u32 v0, v0, v3 :: v_dual_add_nc_u32 v3, 1, v2
	s_delay_alu instid0(VALU_DEP_1) | instskip(NEXT) | instid1(VALU_DEP_2)
	v_cmp_le_u32_e32 vcc_lo, s2, v0
	v_dual_cndmask_b32 v2, v2, v3, vcc_lo :: v_dual_bitop2_b32 v3, s18, v1 bitop3:0x14
	v_subrev_nc_u32_e32 v4, s2, v0
	s_delay_alu instid0(VALU_DEP_1) | instskip(NEXT) | instid1(VALU_DEP_1)
	v_dual_cndmask_b32 v0, v0, v4, vcc_lo :: v_dual_add_nc_u32 v4, 1, v2
	v_cmp_le_u32_e32 vcc_lo, s2, v0
	s_delay_alu instid0(VALU_DEP_4) | instskip(SKIP_4) | instid1(SALU_CYCLE_1)
	v_ashrrev_i32_e32 v3, 31, v3
	s_cselect_b32 s2, -1, 0
	s_cmp_lg_u32 s10, s18
	v_cndmask_b32_e32 v0, v2, v4, vcc_lo
	s_cselect_b32 s3, -1, 0
	s_or_b32 s2, s3, s2
	s_cmp_gt_i32 s4, 0
	s_delay_alu instid0(VALU_DEP_1) | instskip(SKIP_3) | instid1(VALU_DEP_1)
	v_xor_b32_e32 v0, v0, v3
	s_cselect_b32 s5, -1, 0
	s_and_b32 vcc_lo, exec_lo, s2
	s_mov_b32 s2, -1
	v_sub_nc_u32_e32 v0, v0, v3
	s_delay_alu instid0(VALU_DEP_1) | instskip(NEXT) | instid1(VALU_DEP_1)
	v_mul_lo_u32 v2, v0, s18
	v_sub_nc_u32_e32 v2, v1, v2
	s_cbranch_vccz .LBB3_8
; %bb.2:
	s_and_not1_b32 vcc_lo, exec_lo, s5
	s_cbranch_vccnz .LBB3_7
; %bb.3:
	v_cvt_f32_i32_e32 v1, v0
	v_cvt_f32_i32_e32 v3, v2
	s_bitcmp1_b32 s15, 0
	s_load_b256 s[20:27], s[0:1], 0x80
	s_cselect_b32 vcc_lo, -1, 0
	s_delay_alu instid0(VALU_DEP_1) | instskip(SKIP_2) | instid1(VALU_DEP_2)
	v_dual_add_f32 v4, 0.5, v1 :: v_dual_add_f32 v5, 0.5, v3
	v_dual_mul_f32 v1, s13, v1 :: v_dual_mul_f32 v3, s14, v3
	s_mov_b32 s9, 0xbf400000
	v_fma_f32 v4, s13, v4, -0.5
	s_delay_alu instid0(VALU_DEP_3)
	v_fma_f32 v5, s14, v5, -0.5
	s_clause 0x1
	s_load_b256 s[12:19], s[0:1], 0x38
	s_load_b64 s[28:29], s[0:1], 0x58
	s_mov_b32 s11, 0x3fa00000
	s_cmp_gt_i32 s6, 0
	v_dual_cndmask_b32 v4, v4, v1, vcc_lo :: v_dual_cndmask_b32 v6, v5, v3, vcc_lo
	v_dual_mov_b32 v5, 0 :: v_dual_ashrrev_i32 v1, 31, v0
	s_cselect_b32 s30, -1, 0
	s_delay_alu instid0(VALU_DEP_2) | instskip(NEXT) | instid1(VALU_DEP_3)
	v_floor_f32_e32 v10, v4
	v_floor_f32_e32 v8, v6
	s_add_co_i32 s10, s10, -1
	s_add_co_i32 s8, s8, -1
	v_dual_ashrrev_i32 v3, 31, v2 :: v_dual_mov_b32 v7, v5
	s_delay_alu instid0(VALU_DEP_2) | instskip(SKIP_3) | instid1(VALU_DEP_4)
	v_cvt_i32_f32_e32 v8, v8
	v_cvt_i32_f32_e32 v17, v10
	v_dual_mov_b32 v27, v5 :: v_dual_mov_b32 v9, v5
	v_mov_b32_e32 v11, v5
	v_cvt_f32_i32_e32 v10, v8
	s_delay_alu instid0(VALU_DEP_4)
	v_cvt_f32_i32_e32 v12, v17
	v_minmax_i32 v24, v17, s8, 0
	s_wait_kmcnt 0x0
	v_mul_u64_e32 v[20:21], s[26:27], v[2:3]
	v_dual_sub_f32 v13, v6, v10 :: v_dual_add_nc_u32 v22, -1, v17
	v_dual_add_nc_u32 v10, -1, v8 :: v_dual_add_nc_u32 v15, 1, v8
	v_sub_f32_e32 v16, v4, v12
	s_delay_alu instid0(VALU_DEP_3) | instskip(SKIP_1) | instid1(VALU_DEP_3)
	v_dual_add_nc_u32 v18, 2, v8 :: v_dual_add_f32 v14, 1.0, v13
	v_dual_sub_f32 v44, 1.0, v13 :: v_dual_fmaak_f32 v19, s11, v13, 0xc0100000
	v_sub_f32_e32 v36, 1.0, v16
	v_minmax_i32 v6, v8, s10, 0
	s_delay_alu instid0(VALU_DEP_3) | instskip(SKIP_3) | instid1(VALU_DEP_4)
	v_dual_fmaak_f32 v12, s9, v14, 0x40700000 :: v_dual_add_f32 v45, 1.0, v44
	v_minmax_i32 v4, v10, s10, 0
	v_minmax_i32 v8, v15, s10, 0
	;; [unrolled: 1-line block ×3, first 2 shown]
	v_dual_fmaak_f32 v12, v14, v12, 0xc0c00000 :: v_dual_mul_f32 v15, v13, v19
	v_mul_u64_e32 v[18:19], s[24:25], v[0:1]
	v_dual_add_nc_u32 v1, 1, v17 :: v_dual_mov_b32 v25, v5
	v_dual_fmaak_f32 v38, s9, v45, 0x40700000 :: v_dual_mov_b32 v23, v5
	v_minmax_i32 v22, v22, s8, 0
	s_delay_alu instid0(VALU_DEP_3)
	v_minmax_i32 v26, v1, s8, 0
	v_add_nc_u32_e32 v1, 2, v17
	v_mul_u64_e32 v[28:29], s[18:19], v[4:5]
	v_mul_u64_e32 v[30:31], s[18:19], v[6:7]
	v_mul_u64_e32 v[22:23], s[16:17], v[22:23]
	v_mul_u64_e32 v[32:33], s[18:19], v[8:9]
	v_minmax_i32 v4, v1, s8, 0
	v_mul_u64_e32 v[34:35], s[18:19], v[10:11]
	v_mul_u64_e32 v[24:25], s[16:17], v[24:25]
	;; [unrolled: 1-line block ×3, first 2 shown]
	v_add_f32_e32 v9, 1.0, v16
	v_mul_u64_e32 v[40:41], s[16:17], v[4:5]
	v_dual_add_f32 v39, 1.0, v36 :: v_dual_fmaak_f32 v4, s11, v36, 0xc0100000
	v_mov_b64_e32 v[42:43], 0x404000003f800000
	s_delay_alu instid0(VALU_DEP_4) | instskip(SKIP_1) | instid1(VALU_DEP_4)
	v_fmaak_f32 v1, s9, v9, 0x40700000
	v_mov_b64_e32 v[10:11], 0x3f80000040400000
	v_fmaak_f32 v6, s9, v39, 0x40700000
	s_load_b64 s[2:3], s[0:1], 0x10
	v_dual_fmaak_f32 v5, v45, v38, 0xc0c00000 :: v_dual_mul_f32 v38, v36, v4
	v_fmaak_f32 v17, v9, v1, 0xc0c00000
	v_fmaak_f32 v1, s11, v16, 0xc0100000
	;; [unrolled: 1-line block ×3, first 2 shown]
	v_pk_fma_f32 v[10:11], v[12:13], v[14:15], v[10:11]
	s_mov_b32 s7, 0
	v_lshl_add_u64 v[14:15], v[18:19], 2, s[28:29]
	v_mul_f32_e32 v8, v16, v1
	v_mul_f32_e32 v3, v44, v37
	v_fmaak_f32 v37, v39, v6, 0xc0c00000
	s_lshl_b64 s[8:9], s[20:21], 2
	v_lshl_add_u64 v[14:15], v[20:21], 2, v[14:15]
	v_pk_fma_f32 v[8:9], v[16:17], v[8:9], v[42:43]
	v_fma_f32 v4, v44, v3, 1.0
	v_fmaak_f32 v6, v45, v5, 0x40400000
	v_pk_fma_f32 v[12:13], v[38:39], v[36:37], v[42:43]
	v_lshlrev_b64_e32 v[22:23], 2, v[22:23]
	v_lshlrev_b64_e32 v[42:43], 2, v[28:29]
	;; [unrolled: 1-line block ×8, first 2 shown]
	v_add_nc_u64_e32 v[16:17], v[22:23], v[42:43]
	v_add_nc_u64_e32 v[18:19], v[44:45], v[22:23]
	;; [unrolled: 1-line block ×16, first 2 shown]
	v_dual_mov_b32 v5, v4 :: v_dual_mov_b32 v7, v6
	s_lshl_b64 s[10:11], s[22:23], 2
	s_lshl_b64 s[12:13], s[12:13], 2
	;; [unrolled: 1-line block ×3, first 2 shown]
	s_branch .LBB3_5
.LBB3_4:                                ;   in Loop: Header=BB3_5 Depth=1
	v_add_nc_u64_e32 v[14:15], s[8:9], v[14:15]
	s_add_co_i32 s7, s7, 1
	s_add_nc_u64 s[2:3], s[2:3], s[12:13]
	s_cmp_lg_u32 s7, s4
	s_cbranch_scc0 .LBB3_7
.LBB3_5:                                ; =>This Loop Header: Depth=1
                                        ;     Child Loop BB3_6 Depth 2
	s_delay_alu instid0(VALU_DEP_1)
	v_mov_b64_e32 v[48:49], v[14:15]
	s_and_not1_b32 vcc_lo, exec_lo, s30
	s_wait_kmcnt 0x0
	s_mov_b64 s[16:17], s[2:3]
	s_mov_b32 s18, s6
	s_cbranch_vccnz .LBB3_4
.LBB3_6:                                ;   Parent Loop BB3_5 Depth=1
                                        ; =>  This Inner Loop Header: Depth=2
	v_add_nc_u64_e32 v[50:51], s[16:17], v[18:19]
	v_add_nc_u64_e32 v[56:57], s[16:17], v[26:27]
	;; [unrolled: 1-line block ×16, first 2 shown]
	s_clause 0xf
	global_load_b32 v51, v[50:51], off
	global_load_b32 v57, v[56:57], off
	;; [unrolled: 1-line block ×16, first 2 shown]
	s_add_co_i32 s18, s18, -1
	s_add_nc_u64 s[16:17], s[16:17], s[14:15]
	s_cmp_lg_u32 s18, 0
	s_wait_loadcnt 0x9
	v_pk_mul_f32 v[56:57], v[10:11], v[56:57]
	s_wait_loadcnt 0x6
	v_pk_mul_f32 v[52:53], v[10:11], v[52:53]
	s_delay_alu instid0(VALU_DEP_2) | instskip(SKIP_1) | instid1(VALU_DEP_2)
	v_pk_fma_f32 v[50:51], v[10:11], v[50:51], v[56:57] op_sel:[0,0,1] op_sel_hi:[1,1,0]
	s_wait_loadcnt 0x0
	v_pk_fma_f32 v[52:53], v[10:11], v[54:55], v[52:53] op_sel:[0,0,1] op_sel_hi:[1,1,0]
	s_delay_alu instid0(VALU_DEP_2) | instskip(NEXT) | instid1(VALU_DEP_2)
	v_pk_fma_f32 v[50:51], v[4:5], v[58:59], v[50:51]
	v_pk_fma_f32 v[52:53], v[4:5], v[62:63], v[52:53]
	s_delay_alu instid0(VALU_DEP_2) | instskip(NEXT) | instid1(VALU_DEP_2)
	v_pk_fma_f32 v[50:51], v[6:7], v[60:61], v[50:51]
	v_pk_fma_f32 v[52:53], v[6:7], v[64:65], v[52:53]
	s_delay_alu instid0(VALU_DEP_2) | instskip(NEXT) | instid1(VALU_DEP_2)
	v_pk_mul_f32 v[50:51], v[8:9], v[50:51]
	v_pk_mul_f32 v[52:53], v[12:13], v[52:53]
	s_delay_alu instid0(VALU_DEP_2) | instskip(NEXT) | instid1(VALU_DEP_1)
	v_add_f32_e32 v1, v50, v51
	v_add_f32_e32 v1, v52, v1
	s_delay_alu instid0(VALU_DEP_1)
	v_add_f32_e32 v1, v53, v1
	global_store_b32 v[48:49], v1, off
	s_wait_xcnt 0x0
	v_add_nc_u64_e32 v[48:49], s[10:11], v[48:49]
	s_cbranch_scc1 .LBB3_6
	s_branch .LBB3_4
.LBB3_7:
	s_mov_b32 s2, 0
.LBB3_8:
	s_delay_alu instid0(SALU_CYCLE_1)
	s_and_not1_b32 vcc_lo, exec_lo, s2
	s_cbranch_vccnz .LBB3_14
; %bb.9:
	s_and_not1_b32 vcc_lo, exec_lo, s5
	s_cbranch_vccnz .LBB3_14
; %bb.10:
	s_clause 0x1
	s_load_b256 s[8:15], s[0:1], 0x38
	s_load_b256 s[16:23], s[0:1], 0x80
	v_dual_ashrrev_i32 v1, 31, v0 :: v_dual_ashrrev_i32 v3, 31, v2
	s_cmp_gt_i32 s6, 0
	s_mov_b32 s5, 0
	s_cselect_b32 s7, -1, 0
	s_wait_kmcnt 0x0
	v_mul_u64_e32 v[4:5], s[12:13], v[0:1]
	v_mul_u64_e32 v[0:1], s[20:21], v[0:1]
	;; [unrolled: 1-line block ×4, first 2 shown]
	s_clause 0x1
	s_load_b64 s[2:3], s[0:1], 0x10
	s_load_b64 s[12:13], s[0:1], 0x58
	s_wait_xcnt 0x0
	s_lshl_b64 s[0:1], s[16:17], 2
	s_lshl_b64 s[8:9], s[8:9], 2
	;; [unrolled: 1-line block ×3, first 2 shown]
	s_wait_kmcnt 0x0
	s_delay_alu instid0(VALU_DEP_4) | instskip(NEXT) | instid1(VALU_DEP_4)
	v_lshl_add_u64 v[4:5], v[4:5], 2, s[2:3]
	v_lshl_add_u64 v[8:9], v[0:1], 2, s[12:13]
	s_lshl_b64 s[2:3], s[18:19], 2
	s_delay_alu instid0(VALU_DEP_2) | instskip(NEXT) | instid1(VALU_DEP_2)
	v_lshl_add_u64 v[0:1], v[6:7], 2, v[4:5]
	v_lshl_add_u64 v[2:3], v[2:3], 2, v[8:9]
	s_branch .LBB3_12
.LBB3_11:                               ;   in Loop: Header=BB3_12 Depth=1
	v_add_nc_u64_e32 v[2:3], s[0:1], v[2:3]
	v_add_nc_u64_e32 v[0:1], s[8:9], v[0:1]
	s_add_co_i32 s5, s5, 1
	s_delay_alu instid0(SALU_CYCLE_1)
	s_cmp_eq_u32 s5, s4
	s_cbranch_scc1 .LBB3_14
.LBB3_12:                               ; =>This Loop Header: Depth=1
                                        ;     Child Loop BB3_13 Depth 2
	s_delay_alu instid0(VALU_DEP_1) | instskip(NEXT) | instid1(VALU_DEP_2)
	v_mov_b64_e32 v[4:5], v[0:1]
	v_mov_b64_e32 v[6:7], v[2:3]
	s_and_not1_b32 vcc_lo, exec_lo, s7
	s_mov_b32 s12, s6
	s_cbranch_vccnz .LBB3_11
.LBB3_13:                               ;   Parent Loop BB3_12 Depth=1
                                        ; =>  This Inner Loop Header: Depth=2
	global_load_b32 v8, v[4:5], off
	s_wait_xcnt 0x0
	v_add_nc_u64_e32 v[4:5], s[10:11], v[4:5]
	s_add_co_i32 s12, s12, -1
	s_delay_alu instid0(SALU_CYCLE_1)
	s_cmp_eq_u32 s12, 0
	s_wait_loadcnt 0x0
	global_store_b32 v[6:7], v8, off
	s_wait_xcnt 0x0
	v_add_nc_u64_e32 v[6:7], s[2:3], v[6:7]
	s_cbranch_scc0 .LBB3_13
	s_branch .LBB3_11
.LBB3_14:
	s_sendmsg sendmsg(MSG_DEALLOC_VGPRS)
	s_endpgm
	.section	.rodata,"a",@progbits
	.p2align	6, 0x0
	.amdhsa_kernel _ZN2at6native12_GLOBAL__N_128upsample_bicubic2d_out_frameIffEEviT0_S3_bN5torch10headeronly6detail27GenericPackedTensorAccessorINS6_14TensorAccessorIN3c108ArrayRefIlEEKT_Lm3ENS5_16DefaultPtrTraitsElEENS_6detail16IndexBoundsCheckILm4ElEESD_Lm4ESE_lEENS7_INS8_ISB_SC_Lm3ESE_lEESI_SC_Lm4ESE_lEE
		.amdhsa_group_segment_fixed_size 0
		.amdhsa_private_segment_fixed_size 0
		.amdhsa_kernarg_size 416
		.amdhsa_user_sgpr_count 2
		.amdhsa_user_sgpr_dispatch_ptr 0
		.amdhsa_user_sgpr_queue_ptr 0
		.amdhsa_user_sgpr_kernarg_segment_ptr 1
		.amdhsa_user_sgpr_dispatch_id 0
		.amdhsa_user_sgpr_kernarg_preload_length 0
		.amdhsa_user_sgpr_kernarg_preload_offset 0
		.amdhsa_user_sgpr_private_segment_size 0
		.amdhsa_wavefront_size32 1
		.amdhsa_uses_dynamic_stack 0
		.amdhsa_enable_private_segment 0
		.amdhsa_system_sgpr_workgroup_id_x 1
		.amdhsa_system_sgpr_workgroup_id_y 0
		.amdhsa_system_sgpr_workgroup_id_z 0
		.amdhsa_system_sgpr_workgroup_info 0
		.amdhsa_system_vgpr_workitem_id 0
		.amdhsa_next_free_vgpr 82
		.amdhsa_next_free_sgpr 31
		.amdhsa_named_barrier_count 0
		.amdhsa_reserve_vcc 1
		.amdhsa_float_round_mode_32 0
		.amdhsa_float_round_mode_16_64 0
		.amdhsa_float_denorm_mode_32 3
		.amdhsa_float_denorm_mode_16_64 3
		.amdhsa_fp16_overflow 0
		.amdhsa_memory_ordered 1
		.amdhsa_forward_progress 1
		.amdhsa_inst_pref_size 15
		.amdhsa_round_robin_scheduling 0
		.amdhsa_exception_fp_ieee_invalid_op 0
		.amdhsa_exception_fp_denorm_src 0
		.amdhsa_exception_fp_ieee_div_zero 0
		.amdhsa_exception_fp_ieee_overflow 0
		.amdhsa_exception_fp_ieee_underflow 0
		.amdhsa_exception_fp_ieee_inexact 0
		.amdhsa_exception_int_div_zero 0
	.end_amdhsa_kernel
	.section	.text._ZN2at6native12_GLOBAL__N_128upsample_bicubic2d_out_frameIffEEviT0_S3_bN5torch10headeronly6detail27GenericPackedTensorAccessorINS6_14TensorAccessorIN3c108ArrayRefIlEEKT_Lm3ENS5_16DefaultPtrTraitsElEENS_6detail16IndexBoundsCheckILm4ElEESD_Lm4ESE_lEENS7_INS8_ISB_SC_Lm3ESE_lEESI_SC_Lm4ESE_lEE,"axG",@progbits,_ZN2at6native12_GLOBAL__N_128upsample_bicubic2d_out_frameIffEEviT0_S3_bN5torch10headeronly6detail27GenericPackedTensorAccessorINS6_14TensorAccessorIN3c108ArrayRefIlEEKT_Lm3ENS5_16DefaultPtrTraitsElEENS_6detail16IndexBoundsCheckILm4ElEESD_Lm4ESE_lEENS7_INS8_ISB_SC_Lm3ESE_lEESI_SC_Lm4ESE_lEE,comdat
.Lfunc_end3:
	.size	_ZN2at6native12_GLOBAL__N_128upsample_bicubic2d_out_frameIffEEviT0_S3_bN5torch10headeronly6detail27GenericPackedTensorAccessorINS6_14TensorAccessorIN3c108ArrayRefIlEEKT_Lm3ENS5_16DefaultPtrTraitsElEENS_6detail16IndexBoundsCheckILm4ElEESD_Lm4ESE_lEENS7_INS8_ISB_SC_Lm3ESE_lEESI_SC_Lm4ESE_lEE, .Lfunc_end3-_ZN2at6native12_GLOBAL__N_128upsample_bicubic2d_out_frameIffEEviT0_S3_bN5torch10headeronly6detail27GenericPackedTensorAccessorINS6_14TensorAccessorIN3c108ArrayRefIlEEKT_Lm3ENS5_16DefaultPtrTraitsElEENS_6detail16IndexBoundsCheckILm4ElEESD_Lm4ESE_lEENS7_INS8_ISB_SC_Lm3ESE_lEESI_SC_Lm4ESE_lEE
                                        ; -- End function
	.set _ZN2at6native12_GLOBAL__N_128upsample_bicubic2d_out_frameIffEEviT0_S3_bN5torch10headeronly6detail27GenericPackedTensorAccessorINS6_14TensorAccessorIN3c108ArrayRefIlEEKT_Lm3ENS5_16DefaultPtrTraitsElEENS_6detail16IndexBoundsCheckILm4ElEESD_Lm4ESE_lEENS7_INS8_ISB_SC_Lm3ESE_lEESI_SC_Lm4ESE_lEE.num_vgpr, 82
	.set _ZN2at6native12_GLOBAL__N_128upsample_bicubic2d_out_frameIffEEviT0_S3_bN5torch10headeronly6detail27GenericPackedTensorAccessorINS6_14TensorAccessorIN3c108ArrayRefIlEEKT_Lm3ENS5_16DefaultPtrTraitsElEENS_6detail16IndexBoundsCheckILm4ElEESD_Lm4ESE_lEENS7_INS8_ISB_SC_Lm3ESE_lEESI_SC_Lm4ESE_lEE.num_agpr, 0
	.set _ZN2at6native12_GLOBAL__N_128upsample_bicubic2d_out_frameIffEEviT0_S3_bN5torch10headeronly6detail27GenericPackedTensorAccessorINS6_14TensorAccessorIN3c108ArrayRefIlEEKT_Lm3ENS5_16DefaultPtrTraitsElEENS_6detail16IndexBoundsCheckILm4ElEESD_Lm4ESE_lEENS7_INS8_ISB_SC_Lm3ESE_lEESI_SC_Lm4ESE_lEE.numbered_sgpr, 31
	.set _ZN2at6native12_GLOBAL__N_128upsample_bicubic2d_out_frameIffEEviT0_S3_bN5torch10headeronly6detail27GenericPackedTensorAccessorINS6_14TensorAccessorIN3c108ArrayRefIlEEKT_Lm3ENS5_16DefaultPtrTraitsElEENS_6detail16IndexBoundsCheckILm4ElEESD_Lm4ESE_lEENS7_INS8_ISB_SC_Lm3ESE_lEESI_SC_Lm4ESE_lEE.num_named_barrier, 0
	.set _ZN2at6native12_GLOBAL__N_128upsample_bicubic2d_out_frameIffEEviT0_S3_bN5torch10headeronly6detail27GenericPackedTensorAccessorINS6_14TensorAccessorIN3c108ArrayRefIlEEKT_Lm3ENS5_16DefaultPtrTraitsElEENS_6detail16IndexBoundsCheckILm4ElEESD_Lm4ESE_lEENS7_INS8_ISB_SC_Lm3ESE_lEESI_SC_Lm4ESE_lEE.private_seg_size, 0
	.set _ZN2at6native12_GLOBAL__N_128upsample_bicubic2d_out_frameIffEEviT0_S3_bN5torch10headeronly6detail27GenericPackedTensorAccessorINS6_14TensorAccessorIN3c108ArrayRefIlEEKT_Lm3ENS5_16DefaultPtrTraitsElEENS_6detail16IndexBoundsCheckILm4ElEESD_Lm4ESE_lEENS7_INS8_ISB_SC_Lm3ESE_lEESI_SC_Lm4ESE_lEE.uses_vcc, 1
	.set _ZN2at6native12_GLOBAL__N_128upsample_bicubic2d_out_frameIffEEviT0_S3_bN5torch10headeronly6detail27GenericPackedTensorAccessorINS6_14TensorAccessorIN3c108ArrayRefIlEEKT_Lm3ENS5_16DefaultPtrTraitsElEENS_6detail16IndexBoundsCheckILm4ElEESD_Lm4ESE_lEENS7_INS8_ISB_SC_Lm3ESE_lEESI_SC_Lm4ESE_lEE.uses_flat_scratch, 0
	.set _ZN2at6native12_GLOBAL__N_128upsample_bicubic2d_out_frameIffEEviT0_S3_bN5torch10headeronly6detail27GenericPackedTensorAccessorINS6_14TensorAccessorIN3c108ArrayRefIlEEKT_Lm3ENS5_16DefaultPtrTraitsElEENS_6detail16IndexBoundsCheckILm4ElEESD_Lm4ESE_lEENS7_INS8_ISB_SC_Lm3ESE_lEESI_SC_Lm4ESE_lEE.has_dyn_sized_stack, 0
	.set _ZN2at6native12_GLOBAL__N_128upsample_bicubic2d_out_frameIffEEviT0_S3_bN5torch10headeronly6detail27GenericPackedTensorAccessorINS6_14TensorAccessorIN3c108ArrayRefIlEEKT_Lm3ENS5_16DefaultPtrTraitsElEENS_6detail16IndexBoundsCheckILm4ElEESD_Lm4ESE_lEENS7_INS8_ISB_SC_Lm3ESE_lEESI_SC_Lm4ESE_lEE.has_recursion, 0
	.set _ZN2at6native12_GLOBAL__N_128upsample_bicubic2d_out_frameIffEEviT0_S3_bN5torch10headeronly6detail27GenericPackedTensorAccessorINS6_14TensorAccessorIN3c108ArrayRefIlEEKT_Lm3ENS5_16DefaultPtrTraitsElEENS_6detail16IndexBoundsCheckILm4ElEESD_Lm4ESE_lEENS7_INS8_ISB_SC_Lm3ESE_lEESI_SC_Lm4ESE_lEE.has_indirect_call, 0
	.section	.AMDGPU.csdata,"",@progbits
; Kernel info:
; codeLenInByte = 1872
; TotalNumSgprs: 33
; NumVgprs: 82
; ScratchSize: 0
; MemoryBound: 0
; FloatMode: 240
; IeeeMode: 1
; LDSByteSize: 0 bytes/workgroup (compile time only)
; SGPRBlocks: 0
; VGPRBlocks: 5
; NumSGPRsForWavesPerEU: 33
; NumVGPRsForWavesPerEU: 82
; NamedBarCnt: 0
; Occupancy: 10
; WaveLimiterHint : 1
; COMPUTE_PGM_RSRC2:SCRATCH_EN: 0
; COMPUTE_PGM_RSRC2:USER_SGPR: 2
; COMPUTE_PGM_RSRC2:TRAP_HANDLER: 0
; COMPUTE_PGM_RSRC2:TGID_X_EN: 1
; COMPUTE_PGM_RSRC2:TGID_Y_EN: 0
; COMPUTE_PGM_RSRC2:TGID_Z_EN: 0
; COMPUTE_PGM_RSRC2:TIDIG_COMP_CNT: 0
	.section	.text._ZN2at6native12_GLOBAL__N_137upsample_bicubic2d_out_frame_parallelIN3c104HalfEfEEviT0_S5_bN5torch10headeronly6detail27GenericPackedTensorAccessorINS8_14TensorAccessorINS3_8ArrayRefIlEEKT_Lm3ENS7_16DefaultPtrTraitsElEENS_6detail16IndexBoundsCheckILm4ElEESE_Lm4ESF_lEENS9_INSA_ISC_SD_Lm3ESF_lEESJ_SD_Lm4ESF_lEE,"axG",@progbits,_ZN2at6native12_GLOBAL__N_137upsample_bicubic2d_out_frame_parallelIN3c104HalfEfEEviT0_S5_bN5torch10headeronly6detail27GenericPackedTensorAccessorINS8_14TensorAccessorINS3_8ArrayRefIlEEKT_Lm3ENS7_16DefaultPtrTraitsElEENS_6detail16IndexBoundsCheckILm4ElEESE_Lm4ESF_lEENS9_INSA_ISC_SD_Lm3ESF_lEESJ_SD_Lm4ESF_lEE,comdat
	.globl	_ZN2at6native12_GLOBAL__N_137upsample_bicubic2d_out_frame_parallelIN3c104HalfEfEEviT0_S5_bN5torch10headeronly6detail27GenericPackedTensorAccessorINS8_14TensorAccessorINS3_8ArrayRefIlEEKT_Lm3ENS7_16DefaultPtrTraitsElEENS_6detail16IndexBoundsCheckILm4ElEESE_Lm4ESF_lEENS9_INSA_ISC_SD_Lm3ESF_lEESJ_SD_Lm4ESF_lEE ; -- Begin function _ZN2at6native12_GLOBAL__N_137upsample_bicubic2d_out_frame_parallelIN3c104HalfEfEEviT0_S5_bN5torch10headeronly6detail27GenericPackedTensorAccessorINS8_14TensorAccessorINS3_8ArrayRefIlEEKT_Lm3ENS7_16DefaultPtrTraitsElEENS_6detail16IndexBoundsCheckILm4ElEESE_Lm4ESF_lEENS9_INSA_ISC_SD_Lm3ESF_lEESJ_SD_Lm4ESF_lEE
	.p2align	8
	.type	_ZN2at6native12_GLOBAL__N_137upsample_bicubic2d_out_frame_parallelIN3c104HalfEfEEviT0_S5_bN5torch10headeronly6detail27GenericPackedTensorAccessorINS8_14TensorAccessorINS3_8ArrayRefIlEEKT_Lm3ENS7_16DefaultPtrTraitsElEENS_6detail16IndexBoundsCheckILm4ElEESE_Lm4ESF_lEENS9_INSA_ISC_SD_Lm3ESF_lEESJ_SD_Lm4ESF_lEE,@function
_ZN2at6native12_GLOBAL__N_137upsample_bicubic2d_out_frame_parallelIN3c104HalfEfEEviT0_S5_bN5torch10headeronly6detail27GenericPackedTensorAccessorINS8_14TensorAccessorINS3_8ArrayRefIlEEKT_Lm3ENS7_16DefaultPtrTraitsElEENS_6detail16IndexBoundsCheckILm4ElEESE_Lm4ESF_lEENS9_INSA_ISC_SD_Lm3ESF_lEESJ_SD_Lm4ESF_lEE: ; @_ZN2at6native12_GLOBAL__N_137upsample_bicubic2d_out_frame_parallelIN3c104HalfEfEEviT0_S5_bN5torch10headeronly6detail27GenericPackedTensorAccessorINS8_14TensorAccessorINS3_8ArrayRefIlEEKT_Lm3ENS7_16DefaultPtrTraitsElEENS_6detail16IndexBoundsCheckILm4ElEESE_Lm4ESF_lEENS9_INSA_ISC_SD_Lm3ESF_lEESJ_SD_Lm4ESF_lEE
; %bb.0:
	s_clause 0x1
	s_load_b32 s3, s[0:1], 0xac
	s_load_b128 s[4:7], s[0:1], 0x0
	s_bfe_u32 s2, ttmp6, 0x4000c
	s_and_b32 s8, ttmp6, 15
	s_add_co_i32 s9, s2, 1
	s_getreg_b32 s2, hwreg(HW_REG_IB_STS2, 6, 4)
	s_mul_i32 s9, ttmp9, s9
	s_delay_alu instid0(SALU_CYCLE_1) | instskip(SKIP_4) | instid1(SALU_CYCLE_1)
	s_add_co_i32 s8, s8, s9
	s_wait_kmcnt 0x0
	s_and_b32 s3, s3, 0xffff
	s_cmp_eq_u32 s2, 0
	s_cselect_b32 s8, ttmp9, s8
	v_mad_u32 v1, s8, s3, v0
	s_mov_b32 s3, exec_lo
	s_delay_alu instid0(VALU_DEP_1)
	v_cmpx_gt_i32_e64 s4, v1
	s_cbranch_execz .LBB4_10
; %bb.1:
	s_clause 0x2
	s_load_b128 s[8:11], s[0:1], 0x70
	s_load_b128 s[20:23], s[0:1], 0x20
	s_load_b32 s31, s[0:1], 0x30
	s_add_nc_u64 s[24:25], s[0:1], 0xa0
	s_wait_kmcnt 0x0
	s_abs_i32 s3, s10
	s_delay_alu instid0(SALU_CYCLE_1) | instskip(SKIP_1) | instid1(SALU_CYCLE_2)
	s_cvt_f32_u32 s4, s3
	s_sub_co_i32 s9, 0, s3
	v_rcp_iflag_f32_e32 v0, s4
	v_nop
	s_delay_alu instid0(TRANS32_DEP_1) | instskip(SKIP_2) | instid1(VALU_DEP_1)
	v_readfirstlane_b32 s4, v0
	v_sub_nc_u32_e32 v0, 0, v1
	s_mul_f32 s4, s4, 0x4f7ffffe
	v_max_i32_e32 v0, v1, v0
	s_delay_alu instid0(SALU_CYCLE_2) | instskip(NEXT) | instid1(SALU_CYCLE_3)
	s_cvt_u32_f32 s4, s4
	s_mul_i32 s9, s9, s4
	s_delay_alu instid0(SALU_CYCLE_1) | instskip(NEXT) | instid1(SALU_CYCLE_1)
	s_mul_hi_u32 s9, s4, s9
	s_add_co_i32 s4, s4, s9
	s_cmp_lg_u32 s22, s8
	v_mul_hi_u32 v2, v0, s4
	s_load_b32 s4, s[0:1], 0x18
	s_delay_alu instid0(VALU_DEP_1) | instskip(SKIP_2) | instid1(VALU_DEP_1)
	v_mul_lo_u32 v3, v2, s3
	s_wait_kmcnt 0x0
	s_mul_i32 s21, s20, s4
	v_dual_sub_nc_u32 v0, v0, v3 :: v_dual_add_nc_u32 v3, 1, v2
	s_delay_alu instid0(VALU_DEP_1) | instskip(NEXT) | instid1(VALU_DEP_2)
	v_cmp_le_u32_e32 vcc_lo, s3, v0
	v_dual_cndmask_b32 v2, v2, v3, vcc_lo :: v_dual_bitop2_b32 v3, s10, v1 bitop3:0x14
	v_subrev_nc_u32_e32 v4, s3, v0
	s_delay_alu instid0(VALU_DEP_1) | instskip(NEXT) | instid1(VALU_DEP_1)
	v_dual_cndmask_b32 v0, v0, v4, vcc_lo :: v_dual_add_nc_u32 v4, 1, v2
	v_cmp_le_u32_e32 vcc_lo, s3, v0
	s_delay_alu instid0(VALU_DEP_4)
	v_ashrrev_i32_e32 v3, 31, v3
	s_cselect_b32 s3, -1, 0
	s_cmp_lg_u32 s31, s10
	v_cndmask_b32_e32 v0, v2, v4, vcc_lo
	s_cselect_b32 s8, -1, 0
	s_bfe_u32 s11, ttmp6, 0x40014
	s_lshr_b32 s9, ttmp7, 16
	s_add_co_i32 s11, s11, 1
	v_xor_b32_e32 v0, v0, v3
	s_bfe_u32 s12, ttmp6, 0x40008
	s_mul_i32 s11, s9, s11
	s_or_b32 s3, s8, s3
	s_add_co_i32 s12, s12, s11
	v_sub_nc_u32_e32 v0, v0, v3
	s_cmp_eq_u32 s2, 0
	s_cselect_b32 s23, s9, s12
	s_delay_alu instid0(VALU_DEP_1)
	v_mul_lo_u32 v2, v0, s10
	s_cmp_lt_i32 s23, s21
	s_cselect_b32 s30, -1, 0
	s_and_b32 vcc_lo, exec_lo, s3
	v_cndmask_b32_e64 v3, 0, 1, s30
	s_mov_b32 s3, -1
	s_delay_alu instid0(VALU_DEP_1) | instskip(NEXT) | instid1(VALU_DEP_3)
	v_cmp_ne_u32_e64 s2, 1, v3
	v_sub_nc_u32_e32 v2, v1, v2
	s_cbranch_vccz .LBB4_6
; %bb.2:
	s_and_b32 vcc_lo, exec_lo, s2
	s_cbranch_vccnz .LBB4_5
; %bb.3:
	v_cvt_f32_i32_e32 v1, v0
	v_cvt_f32_i32_e32 v3, v2
	s_bitcmp1_b32 s7, 0
	s_mov_b32 s2, 0xbf400000
	s_cselect_b32 vcc_lo, -1, 0
	s_delay_alu instid0(VALU_DEP_1) | instskip(SKIP_2) | instid1(VALU_DEP_2)
	v_dual_add_f32 v4, 0.5, v1 :: v_dual_add_f32 v5, 0.5, v3
	v_dual_mul_f32 v1, s5, v1 :: v_dual_mul_f32 v3, s6, v3
	s_add_co_i32 s31, s31, -1
	v_fma_f32 v4, s5, v4, -0.5
	s_delay_alu instid0(VALU_DEP_3) | instskip(SKIP_3) | instid1(VALU_DEP_1)
	v_fma_f32 v5, s6, v5, -0.5
	s_load_b256 s[4:11], s[0:1], 0x38
	s_add_co_i32 s34, s22, -1
	s_load_b256 s[12:19], s[0:1], 0x80
	v_dual_cndmask_b32 v4, v4, v1 :: v_dual_cndmask_b32 v5, v5, v3
	s_mov_b32 s33, 0x3fa00000
	s_abs_i32 s22, s20
	v_mov_b64_e32 v[42:43], 0x3f80000040400000
	s_delay_alu instid0(VALU_DEP_2)
	v_floor_f32_e32 v3, v4
	v_floor_f32_e32 v1, v5
	s_clause 0x1
	s_load_b64 s[26:27], s[0:1], 0x10
	s_load_b64 s[28:29], s[0:1], 0x58
	v_mov_b64_e32 v[24:25], 0x404000003f800000
	s_mov_b32 s3, 0
	v_cvt_i32_f32_e32 v8, v3
	v_cvt_i32_f32_e32 v6, v1
	v_dual_mov_b32 v17, 0 :: v_dual_ashrrev_i32 v1, 31, v0
	s_delay_alu instid0(VALU_DEP_3) | instskip(NEXT) | instid1(VALU_DEP_3)
	v_dual_ashrrev_i32 v3, 31, v2 :: v_dual_add_nc_u32 v11, -1, v8
	v_dual_add_nc_u32 v10, 1, v6 :: v_dual_add_nc_u32 v7, -1, v6
	v_cvt_f32_i32_e32 v9, v6
	v_add_nc_u32_e32 v12, 2, v8
	s_delay_alu instid0(VALU_DEP_3) | instskip(SKIP_1) | instid1(VALU_DEP_4)
	v_minmax_i32 v16, v7, s31, 0
	v_cvt_f32_i32_e32 v7, v8
	v_dual_sub_f32 v23, v5, v9 :: v_dual_add_nc_u32 v9, 1, v8
	s_wait_kmcnt 0x0
	s_delay_alu instid0(VALU_DEP_3) | instskip(SKIP_1) | instid1(VALU_DEP_3)
	v_mul_u64_e32 v[28:29], s[10:11], v[16:17]
	v_minmax_i32 v16, v6, s31, 0
	v_dual_add_nc_u32 v6, 2, v6 :: v_dual_add_f32 v26, 1.0, v23
	s_delay_alu instid0(VALU_DEP_2) | instskip(SKIP_3) | instid1(VALU_DEP_3)
	v_mul_u64_e32 v[30:31], s[10:11], v[16:17]
	v_minmax_i32 v16, v10, s31, 0
	v_sub_f32_e32 v10, 1.0, v23
	v_sub_f32_e32 v20, v4, v7
	v_mul_u64_e32 v[32:33], s[10:11], v[16:17]
	v_minmax_i32 v16, v6, s31, 0
	s_delay_alu instid0(VALU_DEP_4) | instskip(SKIP_2) | instid1(VALU_DEP_3)
	v_fmaak_f32 v7, s33, v10, 0xc0100000
	v_add_f32_e32 v19, 1.0, v10
	s_sub_co_i32 s31, 0, s20
	v_mul_u64_e32 v[36:37], s[10:11], v[16:17]
	v_minmax_i32 v16, v11, s34, 0
	v_fmaak_f32 v11, s2, v26, 0x40700000
	v_dual_fmaak_f32 v6, s33, v23, 0xc0100000 :: v_dual_add_f32 v35, 1.0, v20
	v_fmaak_f32 v18, s33, v20, 0xc0100000
	s_delay_alu instid0(VALU_DEP_4) | instskip(SKIP_1) | instid1(VALU_DEP_4)
	v_mul_u64_e32 v[4:5], s[8:9], v[16:17]
	v_minmax_i32 v16, v8, s34, 0
	v_dual_sub_f32 v38, 1.0, v20 :: v_dual_mul_f32 v27, v23, v6
	v_fmaak_f32 v8, s2, v35, 0x40700000
	v_mul_f32_e32 v13, v10, v7
	s_delay_alu instid0(VALU_DEP_4) | instskip(SKIP_1) | instid1(VALU_DEP_4)
	v_mul_u64_e32 v[6:7], s[8:9], v[16:17]
	v_minmax_i32 v16, v9, s34, 0
	v_dual_fmaak_f32 v22, v26, v11, 0xc0c00000 :: v_dual_fmaak_f32 v21, v35, v8, 0xc0c00000
	v_dual_add_f32 v41, 1.0, v38 :: v_dual_fmaak_f32 v14, s2, v19, 0x40700000
	v_fma_f32 v8, v10, v13, 1.0
	s_delay_alu instid0(VALU_DEP_4)
	v_mul_u64_e32 v[10:11], s[8:9], v[16:17]
	v_minmax_i32 v16, v12, s34, 0
	v_mul_u64_e32 v[12:13], s[16:17], v[0:1]
	v_fmaak_f32 v39, s2, v41, 0x40700000
	v_fmaak_f32 v9, v19, v14, 0xc0c00000
	v_mul_u64_e32 v[14:15], s[18:19], v[2:3]
	v_mul_u64_e32 v[16:17], s[8:9], v[16:17]
	s_cvt_f32_u32 s10, s22
	s_load_b32 s18, s[24:25], 0x8
	v_pk_fma_f32 v[22:23], v[22:23], v[26:27], v[42:43]
	v_fmaak_f32 v3, s33, v38, 0xc0100000
	v_rcp_iflag_f32_e32 v1, s10
	v_dual_mul_f32 v34, v20, v18 :: v_dual_fmaak_f32 v39, v41, v39, 0xc0c00000
	s_delay_alu instid0(VALU_DEP_2) | instskip(SKIP_1) | instid1(TRANS32_DEP_1)
	v_dual_mov_b32 v26, v23 :: v_dual_mul_f32 v40, v38, v3
	v_dual_fmaak_f32 v18, v19, v9, 0x40400000 :: v_dual_mov_b32 v9, v8
	v_readfirstlane_b32 s2, v1
	s_sub_co_i32 s8, 0, s22
	v_pk_fma_f32 v[20:21], v[20:21], v[34:35], v[24:25]
	v_lshlrev_b64_e32 v[28:29], 1, v[28:29]
	v_lshlrev_b64_e32 v[30:31], 1, v[30:31]
	s_mul_f32 s2, s2, 0x4f7ffffe
	v_lshlrev_b64_e32 v[32:33], 1, v[32:33]
	v_lshlrev_b64_e32 v[34:35], 1, v[36:37]
	v_pk_fma_f32 v[24:25], v[40:41], v[38:39], v[24:25]
	s_cvt_u32_f32 s2, s2
	v_dual_mov_b32 v19, v18 :: v_dual_mov_b32 v27, v22
	s_ashr_i32 s19, s20, 31
	s_delay_alu instid0(SALU_CYCLE_1)
	s_mul_i32 s8, s8, s2
	s_mov_b32 s9, s3
	s_mul_hi_u32 s8, s2, s8
	s_mov_b32 s33, s23
	s_add_co_i32 s8, s2, s8
.LBB4_4:                                ; =>This Inner Loop Header: Depth=1
	s_abs_i32 s2, s33
	s_ashr_i32 s16, s33, 31
	s_mul_u64 s[10:11], s[2:3], s[8:9]
	s_xor_b32 s10, s16, s19
	s_mul_i32 s16, s11, s22
	s_add_co_i32 s17, s11, 1
	s_sub_co_i32 s2, s2, s16
	s_delay_alu instid0(SALU_CYCLE_1)
	s_sub_co_i32 s16, s2, s22
	s_cmp_ge_u32 s2, s22
	s_cselect_b32 s11, s17, s11
	s_cselect_b32 s2, s16, s2
	s_add_co_i32 s16, s11, 1
	s_cmp_ge_u32 s2, s22
	s_cselect_b32 s2, s16, s11
	s_delay_alu instid0(SALU_CYCLE_1) | instskip(NEXT) | instid1(SALU_CYCLE_1)
	s_xor_b32 s2, s2, s10
	s_sub_co_i32 s16, s2, s10
	s_delay_alu instid0(SALU_CYCLE_1)
	s_mul_i32 s2, s31, s16
	s_ashr_i32 s17, s16, 31
	s_add_co_i32 s10, s33, s2
	s_mul_u64 s[34:35], s[4:5], s[16:17]
	s_ashr_i32 s11, s10, 31
	s_lshl_b64 s[34:35], s[34:35], 1
	s_mul_u64 s[36:37], s[6:7], s[10:11]
	s_add_nc_u64 s[34:35], s[26:27], s[34:35]
	s_lshl_b64 s[36:37], s[36:37], 1
	s_mul_u64 s[16:17], s[12:13], s[16:17]
	s_add_nc_u64 s[34:35], s[34:35], s[36:37]
	s_lshl_b64 s[16:17], s[16:17], 1
	v_lshl_add_u64 v[42:43], v[16:17], 1, s[34:35]
	v_lshl_add_u64 v[40:41], v[10:11], 1, s[34:35]
	s_wait_xcnt 0x0
	v_lshl_add_u64 v[36:37], v[4:5], 1, s[34:35]
	v_lshl_add_u64 v[38:39], v[6:7], 1, s[34:35]
	s_mul_u64 s[10:11], s[14:15], s[10:11]
	v_add_nc_u64_e32 v[50:51], v[42:43], v[28:29]
	v_add_nc_u64_e32 v[52:53], v[40:41], v[30:31]
	v_add_nc_u64_e32 v[58:59], v[42:43], v[30:31]
	v_add_nc_u64_e32 v[62:63], v[42:43], v[32:33]
	v_add_nc_u64_e32 v[42:43], v[42:43], v[34:35]
	v_add_nc_u64_e32 v[60:61], v[40:41], v[28:29]
	v_add_nc_u64_e32 v[44:45], v[36:37], v[28:29]
	s_clause 0x1
	global_load_u16 v1, v[50:51], off
	global_load_u16 v3, v[52:53], off
	s_wait_xcnt 0x1
	v_add_nc_u64_e32 v[50:51], v[40:41], v[32:33]
	v_add_nc_u64_e32 v[40:41], v[40:41], v[34:35]
	v_add_nc_u64_e32 v[46:47], v[36:37], v[30:31]
	v_add_nc_u64_e32 v[48:49], v[36:37], v[32:33]
	v_add_nc_u64_e32 v[36:37], v[36:37], v[34:35]
	v_add_nc_u64_e32 v[54:55], v[38:39], v[28:29]
	v_add_nc_u64_e32 v[56:57], v[38:39], v[30:31]
	s_clause 0x1
	global_load_u16 v64, v[58:59], off
	global_load_u16 v65, v[62:63], off
	s_wait_xcnt 0x2
	v_add_nc_u64_e32 v[52:53], v[38:39], v[32:33]
	v_add_nc_u64_e32 v[38:39], v[38:39], v[34:35]
	s_clause 0xb
	global_load_u16 v58, v[50:51], off
	global_load_u16 v59, v[42:43], off
	; meta instruction
	; meta instruction
	global_load_u16 v50, v[40:41], off
	global_load_u16 v51, v[60:61], off
	;; [unrolled: 1-line block ×4, first 2 shown]
	; meta instruction
	; meta instruction
	;; [unrolled: 1-line block ×4, first 2 shown]
	global_load_u16 v40, v[54:55], off
	global_load_u16 v41, v[48:49], off
	;; [unrolled: 1-line block ×6, first 2 shown]
	s_add_nc_u64 s[16:17], s[28:29], s[16:17]
	s_lshl_b64 s[10:11], s[10:11], 1
	s_wait_kmcnt 0x0
	s_add_co_i32 s33, s33, s18
	s_add_nc_u64 s[10:11], s[16:17], s[10:11]
	s_cmp_lt_i32 s33, s21
	s_wait_loadcnt 0x7
	s_wait_xcnt 0x1
	v_cvt_f32_f16_e32 v39, v42
	s_wait_loadcnt 0x6
	s_wait_xcnt 0x0
	v_cvt_f32_f16_e32 v37, v43
	s_wait_loadcnt 0x5
	v_cvt_f32_f16_e32 v36, v40
	s_wait_loadcnt 0x4
	;; [unrolled: 2-line block ×4, first 2 shown]
	v_cvt_f32_f16_e32 v40, v45
	v_cvt_f32_f16_e32 v45, v1
	;; [unrolled: 1-line block ×3, first 2 shown]
	v_pk_mul_f32 v[36:37], v[22:23], v[36:37]
	s_wait_loadcnt 0x0
	v_cvt_f32_f16_e32 v43, v47
	v_cvt_f32_f16_e32 v42, v46
	;; [unrolled: 1-line block ×4, first 2 shown]
	v_pk_mul_f32 v[44:45], v[26:27], v[44:45]
	v_pk_fma_f32 v[36:37], v[26:27], v[38:39], v[36:37]
	v_cvt_f32_f16_e32 v39, v65
	v_cvt_f32_f16_e32 v38, v58
	s_delay_alu instid0(VALU_DEP_4) | instskip(NEXT) | instid1(VALU_DEP_4)
	v_pk_fma_f32 v[44:45], v[22:23], v[46:47], v[44:45]
	v_pk_fma_f32 v[36:37], v[8:9], v[40:41], v[36:37]
	v_cvt_f32_f16_e32 v41, v59
	v_cvt_f32_f16_e32 v40, v50
	s_delay_alu instid0(VALU_DEP_4) | instskip(NEXT) | instid1(VALU_DEP_4)
	v_pk_fma_f32 v[38:39], v[8:9], v[38:39], v[44:45]
	v_pk_fma_f32 v[36:37], v[18:19], v[42:43], v[36:37]
	s_delay_alu instid0(VALU_DEP_2) | instskip(NEXT) | instid1(VALU_DEP_2)
	v_pk_fma_f32 v[38:39], v[18:19], v[40:41], v[38:39]
	v_pk_mul_f32 v[36:37], v[20:21], v[36:37]
	s_delay_alu instid0(VALU_DEP_2) | instskip(NEXT) | instid1(VALU_DEP_2)
	v_pk_mul_f32 v[38:39], v[24:25], v[38:39]
	v_add_f32_e32 v1, v36, v37
	v_lshl_add_u64 v[36:37], v[12:13], 1, s[10:11]
	s_delay_alu instid0(VALU_DEP_2) | instskip(NEXT) | instid1(VALU_DEP_2)
	v_add_f32_e32 v1, v38, v1
	v_lshl_add_u64 v[36:37], v[14:15], 1, v[36:37]
	s_delay_alu instid0(VALU_DEP_2) | instskip(NEXT) | instid1(VALU_DEP_1)
	v_add_f32_e32 v1, v39, v1
	v_cvt_f16_f32_e32 v1, v1
	global_store_b16 v[36:37], v1, off
	s_cbranch_scc1 .LBB4_4
.LBB4_5:
	s_mov_b32 s3, 0
.LBB4_6:
	s_delay_alu instid0(SALU_CYCLE_1)
	s_and_not1_b32 vcc_lo, exec_lo, s3
	s_cbranch_vccnz .LBB4_10
; %bb.7:
	s_and_not1_b32 vcc_lo, exec_lo, s30
	s_cbranch_vccnz .LBB4_10
; %bb.8:
	s_clause 0x1
	s_load_b256 s[4:11], s[0:1], 0x38
	s_load_b256 s[12:19], s[0:1], 0x80
	v_dual_ashrrev_i32 v1, 31, v0 :: v_dual_ashrrev_i32 v3, 31, v2
	s_abs_i32 s22, s20
	s_delay_alu instid0(SALU_CYCLE_1) | instskip(NEXT) | instid1(SALU_CYCLE_3)
	s_cvt_f32_u32 s2, s22
	v_rcp_iflag_f32_e32 v8, s2
	s_wait_kmcnt 0x0
	v_mul_u64_e32 v[4:5], s[8:9], v[0:1]
	v_mul_u64_e32 v[6:7], s[10:11], v[2:3]
	;; [unrolled: 1-line block ×4, first 2 shown]
	s_clause 0x1
	s_load_b64 s[2:3], s[0:1], 0x10
	s_load_b64 s[8:9], s[0:1], 0x58
	s_load_b32 s16, s[24:25], 0x8
	s_wait_xcnt 0x0
	v_readfirstlane_b32 s0, v8
	s_sub_co_i32 s1, 0, s22
	s_ashr_i32 s17, s20, 31
	s_sub_co_i32 s18, 0, s20
	s_mul_f32 s0, s0, 0x4f7ffffe
	s_delay_alu instid0(SALU_CYCLE_3) | instskip(NEXT) | instid1(SALU_CYCLE_3)
	s_cvt_u32_f32 s0, s0
	s_mul_i32 s1, s1, s0
	s_delay_alu instid0(SALU_CYCLE_1)
	s_mul_hi_u32 s10, s0, s1
	s_mov_b32 s1, 0
	s_add_co_i32 s10, s0, s10
	s_mov_b32 s11, s1
.LBB4_9:                                ; =>This Inner Loop Header: Depth=1
	s_abs_i32 s0, s23
	s_ashr_i32 s19, s23, 31
	s_mul_u64 s[24:25], s[0:1], s[10:11]
	s_xor_b32 s19, s19, s17
	s_mul_i32 s20, s25, s22
	s_delay_alu instid0(SALU_CYCLE_1)
	s_sub_co_i32 s0, s0, s20
	s_add_co_i32 s20, s25, 1
	s_sub_co_i32 s24, s0, s22
	s_cmp_ge_u32 s0, s22
	s_cselect_b32 s20, s20, s25
	s_cselect_b32 s0, s24, s0
	s_add_co_i32 s24, s20, 1
	s_cmp_ge_u32 s0, s22
	s_cselect_b32 s0, s24, s20
	s_delay_alu instid0(SALU_CYCLE_1) | instskip(NEXT) | instid1(SALU_CYCLE_1)
	s_xor_b32 s0, s0, s19
	s_sub_co_i32 s24, s0, s19
	s_delay_alu instid0(SALU_CYCLE_1)
	s_mul_i32 s0, s18, s24
	s_ashr_i32 s25, s24, 31
	s_add_co_i32 s26, s23, s0
	s_mul_u64 s[28:29], s[4:5], s[24:25]
	s_ashr_i32 s27, s26, 31
	s_lshl_b64 s[28:29], s[28:29], 1
	s_mul_u64 s[30:31], s[6:7], s[26:27]
	s_wait_kmcnt 0x0
	s_add_nc_u64 s[28:29], s[2:3], s[28:29]
	s_lshl_b64 s[30:31], s[30:31], 1
	s_mul_u64 s[24:25], s[12:13], s[24:25]
	s_add_nc_u64 s[28:29], s[28:29], s[30:31]
	s_lshl_b64 s[24:25], s[24:25], 1
	s_wait_xcnt 0x0
	v_lshl_add_u64 v[8:9], v[4:5], 1, s[28:29]
	s_mul_u64 s[26:27], s[14:15], s[26:27]
	s_add_nc_u64 s[24:25], s[8:9], s[24:25]
	s_lshl_b64 s[26:27], s[26:27], 1
	s_add_co_i32 s23, s23, s16
	v_lshl_add_u64 v[8:9], v[6:7], 1, v[8:9]
	s_add_nc_u64 s[24:25], s[24:25], s[26:27]
	s_cmp_ge_i32 s23, s21
	global_load_u16 v10, v[8:9], off
	s_wait_xcnt 0x0
	v_lshl_add_u64 v[8:9], v[0:1], 1, s[24:25]
	s_delay_alu instid0(VALU_DEP_1)
	v_lshl_add_u64 v[8:9], v[2:3], 1, v[8:9]
	s_wait_loadcnt 0x0
	global_store_b16 v[8:9], v10, off
	s_cbranch_scc0 .LBB4_9
.LBB4_10:
	s_sendmsg sendmsg(MSG_DEALLOC_VGPRS)
	s_endpgm
	.section	.rodata,"a",@progbits
	.p2align	6, 0x0
	.amdhsa_kernel _ZN2at6native12_GLOBAL__N_137upsample_bicubic2d_out_frame_parallelIN3c104HalfEfEEviT0_S5_bN5torch10headeronly6detail27GenericPackedTensorAccessorINS8_14TensorAccessorINS3_8ArrayRefIlEEKT_Lm3ENS7_16DefaultPtrTraitsElEENS_6detail16IndexBoundsCheckILm4ElEESE_Lm4ESF_lEENS9_INSA_ISC_SD_Lm3ESF_lEESJ_SD_Lm4ESF_lEE
		.amdhsa_group_segment_fixed_size 0
		.amdhsa_private_segment_fixed_size 0
		.amdhsa_kernarg_size 416
		.amdhsa_user_sgpr_count 2
		.amdhsa_user_sgpr_dispatch_ptr 0
		.amdhsa_user_sgpr_queue_ptr 0
		.amdhsa_user_sgpr_kernarg_segment_ptr 1
		.amdhsa_user_sgpr_dispatch_id 0
		.amdhsa_user_sgpr_kernarg_preload_length 0
		.amdhsa_user_sgpr_kernarg_preload_offset 0
		.amdhsa_user_sgpr_private_segment_size 0
		.amdhsa_wavefront_size32 1
		.amdhsa_uses_dynamic_stack 0
		.amdhsa_enable_private_segment 0
		.amdhsa_system_sgpr_workgroup_id_x 1
		.amdhsa_system_sgpr_workgroup_id_y 0
		.amdhsa_system_sgpr_workgroup_id_z 1
		.amdhsa_system_sgpr_workgroup_info 0
		.amdhsa_system_vgpr_workitem_id 0
		.amdhsa_next_free_vgpr 66
		.amdhsa_next_free_sgpr 38
		.amdhsa_named_barrier_count 0
		.amdhsa_reserve_vcc 1
		.amdhsa_float_round_mode_32 0
		.amdhsa_float_round_mode_16_64 0
		.amdhsa_float_denorm_mode_32 3
		.amdhsa_float_denorm_mode_16_64 3
		.amdhsa_fp16_overflow 0
		.amdhsa_memory_ordered 1
		.amdhsa_forward_progress 1
		.amdhsa_inst_pref_size 18
		.amdhsa_round_robin_scheduling 0
		.amdhsa_exception_fp_ieee_invalid_op 0
		.amdhsa_exception_fp_denorm_src 0
		.amdhsa_exception_fp_ieee_div_zero 0
		.amdhsa_exception_fp_ieee_overflow 0
		.amdhsa_exception_fp_ieee_underflow 0
		.amdhsa_exception_fp_ieee_inexact 0
		.amdhsa_exception_int_div_zero 0
	.end_amdhsa_kernel
	.section	.text._ZN2at6native12_GLOBAL__N_137upsample_bicubic2d_out_frame_parallelIN3c104HalfEfEEviT0_S5_bN5torch10headeronly6detail27GenericPackedTensorAccessorINS8_14TensorAccessorINS3_8ArrayRefIlEEKT_Lm3ENS7_16DefaultPtrTraitsElEENS_6detail16IndexBoundsCheckILm4ElEESE_Lm4ESF_lEENS9_INSA_ISC_SD_Lm3ESF_lEESJ_SD_Lm4ESF_lEE,"axG",@progbits,_ZN2at6native12_GLOBAL__N_137upsample_bicubic2d_out_frame_parallelIN3c104HalfEfEEviT0_S5_bN5torch10headeronly6detail27GenericPackedTensorAccessorINS8_14TensorAccessorINS3_8ArrayRefIlEEKT_Lm3ENS7_16DefaultPtrTraitsElEENS_6detail16IndexBoundsCheckILm4ElEESE_Lm4ESF_lEENS9_INSA_ISC_SD_Lm3ESF_lEESJ_SD_Lm4ESF_lEE,comdat
.Lfunc_end4:
	.size	_ZN2at6native12_GLOBAL__N_137upsample_bicubic2d_out_frame_parallelIN3c104HalfEfEEviT0_S5_bN5torch10headeronly6detail27GenericPackedTensorAccessorINS8_14TensorAccessorINS3_8ArrayRefIlEEKT_Lm3ENS7_16DefaultPtrTraitsElEENS_6detail16IndexBoundsCheckILm4ElEESE_Lm4ESF_lEENS9_INSA_ISC_SD_Lm3ESF_lEESJ_SD_Lm4ESF_lEE, .Lfunc_end4-_ZN2at6native12_GLOBAL__N_137upsample_bicubic2d_out_frame_parallelIN3c104HalfEfEEviT0_S5_bN5torch10headeronly6detail27GenericPackedTensorAccessorINS8_14TensorAccessorINS3_8ArrayRefIlEEKT_Lm3ENS7_16DefaultPtrTraitsElEENS_6detail16IndexBoundsCheckILm4ElEESE_Lm4ESF_lEENS9_INSA_ISC_SD_Lm3ESF_lEESJ_SD_Lm4ESF_lEE
                                        ; -- End function
	.set _ZN2at6native12_GLOBAL__N_137upsample_bicubic2d_out_frame_parallelIN3c104HalfEfEEviT0_S5_bN5torch10headeronly6detail27GenericPackedTensorAccessorINS8_14TensorAccessorINS3_8ArrayRefIlEEKT_Lm3ENS7_16DefaultPtrTraitsElEENS_6detail16IndexBoundsCheckILm4ElEESE_Lm4ESF_lEENS9_INSA_ISC_SD_Lm3ESF_lEESJ_SD_Lm4ESF_lEE.num_vgpr, 66
	.set _ZN2at6native12_GLOBAL__N_137upsample_bicubic2d_out_frame_parallelIN3c104HalfEfEEviT0_S5_bN5torch10headeronly6detail27GenericPackedTensorAccessorINS8_14TensorAccessorINS3_8ArrayRefIlEEKT_Lm3ENS7_16DefaultPtrTraitsElEENS_6detail16IndexBoundsCheckILm4ElEESE_Lm4ESF_lEENS9_INSA_ISC_SD_Lm3ESF_lEESJ_SD_Lm4ESF_lEE.num_agpr, 0
	.set _ZN2at6native12_GLOBAL__N_137upsample_bicubic2d_out_frame_parallelIN3c104HalfEfEEviT0_S5_bN5torch10headeronly6detail27GenericPackedTensorAccessorINS8_14TensorAccessorINS3_8ArrayRefIlEEKT_Lm3ENS7_16DefaultPtrTraitsElEENS_6detail16IndexBoundsCheckILm4ElEESE_Lm4ESF_lEENS9_INSA_ISC_SD_Lm3ESF_lEESJ_SD_Lm4ESF_lEE.numbered_sgpr, 38
	.set _ZN2at6native12_GLOBAL__N_137upsample_bicubic2d_out_frame_parallelIN3c104HalfEfEEviT0_S5_bN5torch10headeronly6detail27GenericPackedTensorAccessorINS8_14TensorAccessorINS3_8ArrayRefIlEEKT_Lm3ENS7_16DefaultPtrTraitsElEENS_6detail16IndexBoundsCheckILm4ElEESE_Lm4ESF_lEENS9_INSA_ISC_SD_Lm3ESF_lEESJ_SD_Lm4ESF_lEE.num_named_barrier, 0
	.set _ZN2at6native12_GLOBAL__N_137upsample_bicubic2d_out_frame_parallelIN3c104HalfEfEEviT0_S5_bN5torch10headeronly6detail27GenericPackedTensorAccessorINS8_14TensorAccessorINS3_8ArrayRefIlEEKT_Lm3ENS7_16DefaultPtrTraitsElEENS_6detail16IndexBoundsCheckILm4ElEESE_Lm4ESF_lEENS9_INSA_ISC_SD_Lm3ESF_lEESJ_SD_Lm4ESF_lEE.private_seg_size, 0
	.set _ZN2at6native12_GLOBAL__N_137upsample_bicubic2d_out_frame_parallelIN3c104HalfEfEEviT0_S5_bN5torch10headeronly6detail27GenericPackedTensorAccessorINS8_14TensorAccessorINS3_8ArrayRefIlEEKT_Lm3ENS7_16DefaultPtrTraitsElEENS_6detail16IndexBoundsCheckILm4ElEESE_Lm4ESF_lEENS9_INSA_ISC_SD_Lm3ESF_lEESJ_SD_Lm4ESF_lEE.uses_vcc, 1
	.set _ZN2at6native12_GLOBAL__N_137upsample_bicubic2d_out_frame_parallelIN3c104HalfEfEEviT0_S5_bN5torch10headeronly6detail27GenericPackedTensorAccessorINS8_14TensorAccessorINS3_8ArrayRefIlEEKT_Lm3ENS7_16DefaultPtrTraitsElEENS_6detail16IndexBoundsCheckILm4ElEESE_Lm4ESF_lEENS9_INSA_ISC_SD_Lm3ESF_lEESJ_SD_Lm4ESF_lEE.uses_flat_scratch, 0
	.set _ZN2at6native12_GLOBAL__N_137upsample_bicubic2d_out_frame_parallelIN3c104HalfEfEEviT0_S5_bN5torch10headeronly6detail27GenericPackedTensorAccessorINS8_14TensorAccessorINS3_8ArrayRefIlEEKT_Lm3ENS7_16DefaultPtrTraitsElEENS_6detail16IndexBoundsCheckILm4ElEESE_Lm4ESF_lEENS9_INSA_ISC_SD_Lm3ESF_lEESJ_SD_Lm4ESF_lEE.has_dyn_sized_stack, 0
	.set _ZN2at6native12_GLOBAL__N_137upsample_bicubic2d_out_frame_parallelIN3c104HalfEfEEviT0_S5_bN5torch10headeronly6detail27GenericPackedTensorAccessorINS8_14TensorAccessorINS3_8ArrayRefIlEEKT_Lm3ENS7_16DefaultPtrTraitsElEENS_6detail16IndexBoundsCheckILm4ElEESE_Lm4ESF_lEENS9_INSA_ISC_SD_Lm3ESF_lEESJ_SD_Lm4ESF_lEE.has_recursion, 0
	.set _ZN2at6native12_GLOBAL__N_137upsample_bicubic2d_out_frame_parallelIN3c104HalfEfEEviT0_S5_bN5torch10headeronly6detail27GenericPackedTensorAccessorINS8_14TensorAccessorINS3_8ArrayRefIlEEKT_Lm3ENS7_16DefaultPtrTraitsElEENS_6detail16IndexBoundsCheckILm4ElEESE_Lm4ESF_lEENS9_INSA_ISC_SD_Lm3ESF_lEESJ_SD_Lm4ESF_lEE.has_indirect_call, 0
	.section	.AMDGPU.csdata,"",@progbits
; Kernel info:
; codeLenInByte = 2256
; TotalNumSgprs: 40
; NumVgprs: 66
; ScratchSize: 0
; MemoryBound: 0
; FloatMode: 240
; IeeeMode: 1
; LDSByteSize: 0 bytes/workgroup (compile time only)
; SGPRBlocks: 0
; VGPRBlocks: 4
; NumSGPRsForWavesPerEU: 40
; NumVGPRsForWavesPerEU: 66
; NamedBarCnt: 0
; Occupancy: 12
; WaveLimiterHint : 1
; COMPUTE_PGM_RSRC2:SCRATCH_EN: 0
; COMPUTE_PGM_RSRC2:USER_SGPR: 2
; COMPUTE_PGM_RSRC2:TRAP_HANDLER: 0
; COMPUTE_PGM_RSRC2:TGID_X_EN: 1
; COMPUTE_PGM_RSRC2:TGID_Y_EN: 0
; COMPUTE_PGM_RSRC2:TGID_Z_EN: 1
; COMPUTE_PGM_RSRC2:TIDIG_COMP_CNT: 0
	.section	.text._ZN2at6native12_GLOBAL__N_128upsample_bicubic2d_out_frameIN3c104HalfEfEEviT0_S5_bN5torch10headeronly6detail27GenericPackedTensorAccessorINS8_14TensorAccessorINS3_8ArrayRefIlEEKT_Lm3ENS7_16DefaultPtrTraitsElEENS_6detail16IndexBoundsCheckILm4ElEESE_Lm4ESF_lEENS9_INSA_ISC_SD_Lm3ESF_lEESJ_SD_Lm4ESF_lEE,"axG",@progbits,_ZN2at6native12_GLOBAL__N_128upsample_bicubic2d_out_frameIN3c104HalfEfEEviT0_S5_bN5torch10headeronly6detail27GenericPackedTensorAccessorINS8_14TensorAccessorINS3_8ArrayRefIlEEKT_Lm3ENS7_16DefaultPtrTraitsElEENS_6detail16IndexBoundsCheckILm4ElEESE_Lm4ESF_lEENS9_INSA_ISC_SD_Lm3ESF_lEESJ_SD_Lm4ESF_lEE,comdat
	.globl	_ZN2at6native12_GLOBAL__N_128upsample_bicubic2d_out_frameIN3c104HalfEfEEviT0_S5_bN5torch10headeronly6detail27GenericPackedTensorAccessorINS8_14TensorAccessorINS3_8ArrayRefIlEEKT_Lm3ENS7_16DefaultPtrTraitsElEENS_6detail16IndexBoundsCheckILm4ElEESE_Lm4ESF_lEENS9_INSA_ISC_SD_Lm3ESF_lEESJ_SD_Lm4ESF_lEE ; -- Begin function _ZN2at6native12_GLOBAL__N_128upsample_bicubic2d_out_frameIN3c104HalfEfEEviT0_S5_bN5torch10headeronly6detail27GenericPackedTensorAccessorINS8_14TensorAccessorINS3_8ArrayRefIlEEKT_Lm3ENS7_16DefaultPtrTraitsElEENS_6detail16IndexBoundsCheckILm4ElEESE_Lm4ESF_lEENS9_INSA_ISC_SD_Lm3ESF_lEESJ_SD_Lm4ESF_lEE
	.p2align	8
	.type	_ZN2at6native12_GLOBAL__N_128upsample_bicubic2d_out_frameIN3c104HalfEfEEviT0_S5_bN5torch10headeronly6detail27GenericPackedTensorAccessorINS8_14TensorAccessorINS3_8ArrayRefIlEEKT_Lm3ENS7_16DefaultPtrTraitsElEENS_6detail16IndexBoundsCheckILm4ElEESE_Lm4ESF_lEENS9_INSA_ISC_SD_Lm3ESF_lEESJ_SD_Lm4ESF_lEE,@function
_ZN2at6native12_GLOBAL__N_128upsample_bicubic2d_out_frameIN3c104HalfEfEEviT0_S5_bN5torch10headeronly6detail27GenericPackedTensorAccessorINS8_14TensorAccessorINS3_8ArrayRefIlEEKT_Lm3ENS7_16DefaultPtrTraitsElEENS_6detail16IndexBoundsCheckILm4ElEESE_Lm4ESF_lEENS9_INSA_ISC_SD_Lm3ESF_lEESJ_SD_Lm4ESF_lEE: ; @_ZN2at6native12_GLOBAL__N_128upsample_bicubic2d_out_frameIN3c104HalfEfEEviT0_S5_bN5torch10headeronly6detail27GenericPackedTensorAccessorINS8_14TensorAccessorINS3_8ArrayRefIlEEKT_Lm3ENS7_16DefaultPtrTraitsElEENS_6detail16IndexBoundsCheckILm4ElEESE_Lm4ESF_lEENS9_INSA_ISC_SD_Lm3ESF_lEESJ_SD_Lm4ESF_lEE
; %bb.0:
	s_clause 0x1
	s_load_b32 s2, s[0:1], 0xac
	s_load_b128 s[12:15], s[0:1], 0x0
	s_bfe_u32 s3, ttmp6, 0x4000c
	s_and_b32 s4, ttmp6, 15
	s_add_co_i32 s3, s3, 1
	s_getreg_b32 s5, hwreg(HW_REG_IB_STS2, 6, 4)
	s_mul_i32 s3, ttmp9, s3
	s_delay_alu instid0(SALU_CYCLE_1) | instskip(SKIP_4) | instid1(SALU_CYCLE_1)
	s_add_co_i32 s4, s4, s3
	s_wait_kmcnt 0x0
	s_and_b32 s2, s2, 0xffff
	s_cmp_eq_u32 s5, 0
	s_cselect_b32 s3, ttmp9, s4
	v_mad_u32 v1, s3, s2, v0
	s_mov_b32 s2, exec_lo
	s_delay_alu instid0(VALU_DEP_1)
	v_cmpx_gt_i32_e64 s12, v1
	s_cbranch_execz .LBB5_14
; %bb.1:
	s_load_b128 s[16:19], s[0:1], 0x70
	s_wait_kmcnt 0x0
	s_abs_i32 s2, s18
	s_delay_alu instid0(SALU_CYCLE_1) | instskip(SKIP_1) | instid1(SALU_CYCLE_2)
	s_cvt_f32_u32 s3, s2
	s_sub_co_i32 s4, 0, s2
	v_rcp_iflag_f32_e32 v0, s3
	v_nop
	s_delay_alu instid0(TRANS32_DEP_1) | instskip(SKIP_2) | instid1(VALU_DEP_1)
	v_readfirstlane_b32 s3, v0
	v_sub_nc_u32_e32 v0, 0, v1
	s_mul_f32 s3, s3, 0x4f7ffffe
	v_max_i32_e32 v0, v1, v0
	s_delay_alu instid0(SALU_CYCLE_2) | instskip(NEXT) | instid1(SALU_CYCLE_3)
	s_cvt_u32_f32 s3, s3
	s_mul_i32 s4, s4, s3
	s_delay_alu instid0(SALU_CYCLE_1) | instskip(NEXT) | instid1(SALU_CYCLE_1)
	s_mul_hi_u32 s4, s3, s4
	s_add_co_i32 s3, s3, s4
	s_load_b256 s[4:11], s[0:1], 0x18
	v_mul_hi_u32 v2, v0, s3
	s_delay_alu instid0(VALU_DEP_1) | instskip(SKIP_2) | instid1(VALU_DEP_1)
	v_mul_lo_u32 v3, v2, s2
	s_wait_kmcnt 0x0
	s_cmp_lg_u32 s8, s16
	v_dual_sub_nc_u32 v0, v0, v3 :: v_dual_add_nc_u32 v3, 1, v2
	s_delay_alu instid0(VALU_DEP_1) | instskip(NEXT) | instid1(VALU_DEP_2)
	v_cmp_le_u32_e32 vcc_lo, s2, v0
	v_dual_cndmask_b32 v2, v2, v3, vcc_lo :: v_dual_bitop2_b32 v3, s18, v1 bitop3:0x14
	v_subrev_nc_u32_e32 v4, s2, v0
	s_delay_alu instid0(VALU_DEP_1) | instskip(NEXT) | instid1(VALU_DEP_1)
	v_dual_cndmask_b32 v0, v0, v4, vcc_lo :: v_dual_add_nc_u32 v4, 1, v2
	v_cmp_le_u32_e32 vcc_lo, s2, v0
	s_delay_alu instid0(VALU_DEP_4) | instskip(SKIP_4) | instid1(SALU_CYCLE_1)
	v_ashrrev_i32_e32 v3, 31, v3
	s_cselect_b32 s2, -1, 0
	s_cmp_lg_u32 s10, s18
	v_cndmask_b32_e32 v0, v2, v4, vcc_lo
	s_cselect_b32 s3, -1, 0
	s_or_b32 s2, s3, s2
	s_cmp_gt_i32 s4, 0
	s_delay_alu instid0(VALU_DEP_1) | instskip(SKIP_3) | instid1(VALU_DEP_1)
	v_xor_b32_e32 v0, v0, v3
	s_cselect_b32 s5, -1, 0
	s_and_b32 vcc_lo, exec_lo, s2
	s_mov_b32 s2, -1
	v_sub_nc_u32_e32 v0, v0, v3
	s_delay_alu instid0(VALU_DEP_1) | instskip(NEXT) | instid1(VALU_DEP_1)
	v_mul_lo_u32 v2, v0, s18
	v_sub_nc_u32_e32 v2, v1, v2
	s_cbranch_vccz .LBB5_8
; %bb.2:
	s_and_not1_b32 vcc_lo, exec_lo, s5
	s_cbranch_vccnz .LBB5_7
; %bb.3:
	v_cvt_f32_i32_e32 v1, v0
	v_cvt_f32_i32_e32 v3, v2
	s_bitcmp1_b32 s15, 0
	s_load_b256 s[20:27], s[0:1], 0x80
	s_cselect_b32 vcc_lo, -1, 0
	s_delay_alu instid0(VALU_DEP_1) | instskip(SKIP_2) | instid1(VALU_DEP_2)
	v_dual_add_f32 v4, 0.5, v1 :: v_dual_add_f32 v5, 0.5, v3
	v_dual_mul_f32 v1, s13, v1 :: v_dual_mul_f32 v3, s14, v3
	s_cmp_gt_i32 s6, 0
	v_fma_f32 v4, s13, v4, -0.5
	s_delay_alu instid0(VALU_DEP_3) | instskip(SKIP_3) | instid1(VALU_DEP_1)
	v_fma_f32 v5, s14, v5, -0.5
	s_mov_b32 s9, 0xbf400000
	s_mov_b32 s11, 0x3fa00000
	s_cselect_b32 s30, -1, 0
	v_dual_cndmask_b32 v1, v4, v1, vcc_lo :: v_dual_cndmask_b32 v3, v5, v3, vcc_lo
	s_add_co_i32 s10, s10, -1
	s_clause 0x1
	s_load_b256 s[12:19], s[0:1], 0x38
	s_load_b64 s[28:29], s[0:1], 0x58
	s_add_co_i32 s8, s8, -1
	v_floor_f32_e32 v6, v1
	v_floor_f32_e32 v4, v3
	v_mov_b64_e32 v[44:45], 0x404000003f800000
	s_load_b64 s[2:3], s[0:1], 0x10
	s_mov_b32 s7, 0
	v_cvt_i32_f32_e32 v15, v6
	v_cvt_i32_f32_e32 v4, v4
	s_delay_alu instid0(VALU_DEP_2) | instskip(NEXT) | instid1(VALU_DEP_2)
	v_dual_mov_b32 v5, 0 :: v_dual_add_nc_u32 v18, -1, v15
	v_cvt_f32_i32_e32 v6, v4
	v_cvt_f32_i32_e32 v8, v15
	s_delay_alu instid0(VALU_DEP_3) | instskip(SKIP_1) | instid1(VALU_DEP_4)
	v_dual_mov_b32 v11, v5 :: v_dual_add_nc_u32 v10, -1, v4
	v_dual_mov_b32 v7, v5 :: v_dual_mov_b32 v9, v5
	v_dual_sub_f32 v13, v3, v6 :: v_dual_add_nc_u32 v3, 1, v4
	v_add_nc_u32_e32 v12, 2, v4
	v_sub_f32_e32 v14, v1, v8
	v_minmax_i32 v6, v4, s10, 0
	s_delay_alu instid0(VALU_DEP_4) | instskip(SKIP_3) | instid1(VALU_DEP_4)
	v_dual_add_f32 v16, 1.0, v13 :: v_dual_fmaak_f32 v1, s11, v13, 0xc0100000
	v_minmax_i32 v8, v3, s10, 0
	v_minmax_i32 v4, v10, s10, 0
	;; [unrolled: 1-line block ×3, first 2 shown]
	v_fmaak_f32 v3, s9, v16, 0x40700000
	v_sub_f32_e32 v39, 1.0, v13
	v_dual_mul_f32 v17, v13, v1 :: v_dual_ashrrev_i32 v1, 31, v0
	v_sub_f32_e32 v38, 1.0, v14
	s_delay_alu instid0(VALU_DEP_4) | instskip(NEXT) | instid1(VALU_DEP_4)
	v_fmaak_f32 v12, v16, v3, 0xc0c00000
	v_fmaak_f32 v19, s11, v39, 0xc0100000
	v_ashrrev_i32_e32 v3, 31, v2
	s_wait_kmcnt 0x0
	v_mul_u64_e32 v[20:21], s[24:25], v[0:1]
	v_dual_add_nc_u32 v1, 1, v15 :: v_dual_mov_b32 v29, v5
	v_dual_mul_f32 v40, v39, v19 :: v_dual_add_f32 v19, 1.0, v14
	v_minmax_i32 v24, v18, s8, 0
	s_delay_alu instid0(VALU_DEP_3) | instskip(SKIP_4) | instid1(VALU_DEP_4)
	v_minmax_i32 v28, v1, s8, 0
	v_dual_add_nc_u32 v1, 2, v15 :: v_dual_mov_b32 v25, v5
	v_mov_b32_e32 v27, v5
	v_minmax_i32 v26, v15, s8, 0
	v_mul_u64_e32 v[32:33], s[18:19], v[6:7]
	v_minmax_i32 v6, v1, s8, 0
	v_mul_u64_e32 v[24:25], s[16:17], v[24:25]
	v_mul_u64_e32 v[30:31], s[18:19], v[4:5]
	;; [unrolled: 1-line block ×7, first 2 shown]
	v_add_f32_e32 v46, 1.0, v39
	v_mul_u64_e32 v[22:23], s[26:27], v[2:3]
	v_fmaak_f32 v3, s9, v19, 0x40700000
	v_mov_b64_e32 v[10:11], 0x3f80000040400000
	v_fmaak_f32 v5, s11, v38, 0xc0100000
	v_fma_f32 v4, v39, v40, 1.0
	s_lshl_b64 s[12:13], s[12:13], 1
	v_fmaak_f32 v15, v19, v3, 0xc0c00000
	v_fmaak_f32 v3, s11, v14, 0xc0100000
	v_fmaak_f32 v41, s9, v46, 0x40700000
	v_pk_fma_f32 v[10:11], v[12:13], v[16:17], v[10:11]
	v_mul_f32_e32 v40, v38, v5
	v_lshl_add_u64 v[20:21], v[20:21], 1, s[28:29]
	v_mul_f32_e32 v18, v14, v3
	s_delay_alu instid0(VALU_DEP_4) | instskip(SKIP_1) | instid1(VALU_DEP_3)
	v_dual_fmaak_f32 v1, v46, v41, 0xc0c00000 :: v_dual_mov_b32 v16, v11
	v_dual_add_f32 v41, 1.0, v38 :: v_dual_mov_b32 v5, v4
	v_pk_fma_f32 v[8:9], v[14:15], v[18:19], v[44:45]
	v_mov_b32_e32 v17, v10
	s_lshl_b64 s[10:11], s[22:23], 1
	s_delay_alu instid0(VALU_DEP_3) | instskip(SKIP_3) | instid1(VALU_DEP_2)
	v_fmaak_f32 v6, s9, v41, 0x40700000
	s_lshl_b64 s[8:9], s[20:21], 1
	s_lshl_b64 s[14:15], s[14:15], 1
	v_lshlrev_b64_e32 v[24:25], 1, v[24:25]
	v_fmaak_f32 v39, v41, v6, 0xc0c00000
	v_fmaak_f32 v6, v46, v1, 0x40400000
	v_lshlrev_b64_e32 v[46:47], 1, v[32:33]
	v_lshlrev_b64_e32 v[48:49], 1, v[34:35]
	;; [unrolled: 1-line block ×3, first 2 shown]
	v_pk_fma_f32 v[12:13], v[40:41], v[38:39], v[44:45]
	v_lshlrev_b64_e32 v[44:45], 1, v[30:31]
	v_lshlrev_b64_e32 v[32:33], 1, v[26:27]
	;; [unrolled: 1-line block ×4, first 2 shown]
	v_lshl_add_u64 v[14:15], v[22:23], 1, v[20:21]
	v_add_nc_u64_e32 v[20:21], v[46:47], v[24:25]
	v_add_nc_u64_e32 v[22:23], v[24:25], v[48:49]
	;; [unrolled: 1-line block ×16, first 2 shown]
	v_mov_b32_e32 v7, v6
	s_branch .LBB5_5
.LBB5_4:                                ;   in Loop: Header=BB5_5 Depth=1
	v_add_nc_u64_e32 v[14:15], s[8:9], v[14:15]
	s_add_co_i32 s7, s7, 1
	s_add_nc_u64 s[2:3], s[2:3], s[12:13]
	s_cmp_lg_u32 s7, s4
	s_cbranch_scc0 .LBB5_7
.LBB5_5:                                ; =>This Loop Header: Depth=1
                                        ;     Child Loop BB5_6 Depth 2
	s_delay_alu instid0(VALU_DEP_1)
	v_mov_b64_e32 v[50:51], v[14:15]
	s_and_not1_b32 vcc_lo, exec_lo, s30
	s_mov_b64 s[16:17], s[2:3]
	s_mov_b32 s18, s6
	s_cbranch_vccnz .LBB5_4
.LBB5_6:                                ;   Parent Loop BB5_5 Depth=1
                                        ; =>  This Inner Loop Header: Depth=2
	v_add_nc_u64_e32 v[52:53], s[16:17], v[20:21]
	v_add_nc_u64_e32 v[54:55], s[16:17], v[26:27]
	;; [unrolled: 1-line block ×7, first 2 shown]
	s_clause 0x1
	global_load_u16 v1, v[52:53], off
	global_load_u16 v3, v[54:55], off
	s_wait_xcnt 0x1
	v_add_nc_u64_e32 v[52:53], s[16:17], v[24:25]
	s_clause 0x3
	global_load_u16 v66, v[58:59], off
	global_load_u16 v60, v[60:61], off
	;; [unrolled: 1-line block ×4, first 2 shown]
	v_add_nc_u64_e32 v[54:55], s[16:17], v[36:37]
	s_clause 0x1
	global_load_u16 v63, v[52:53], off
	global_load_u16 v56, v[56:57], off
	v_add_nc_u64_e32 v[58:59], s[16:17], v[42:43]
	s_wait_xcnt 0x1
	v_add_nc_u64_e32 v[52:53], s[16:17], v[44:45]
	s_clause 0x1
	global_load_u16 v57, v[54:55], off
	global_load_u16 v58, v[58:59], off
	s_wait_xcnt 0x1
	v_add_nc_u64_e32 v[54:55], s[16:17], v[46:47]
	s_clause 0x1
	global_load_u16 v59, v[52:53], off
	global_load_u16 v64, v[54:55], off
	s_wait_xcnt 0x1
	v_add_nc_u64_e32 v[52:53], s[16:17], v[38:39]
	s_add_co_i32 s18, s18, -1
	s_delay_alu instid0(SALU_CYCLE_1)
	s_cmp_lg_u32 s18, 0
	global_load_u16 v65, v[52:53], off
	s_wait_xcnt 0x0
	v_add_nc_u64_e32 v[52:53], s[16:17], v[48:49]
	global_load_u16 v67, v[52:53], off
	s_wait_loadcnt 0xd
	s_wait_xcnt 0x0
	v_cvt_f32_f16_e32 v53, v1
	s_wait_loadcnt 0xc
	v_cvt_f32_f16_e32 v52, v3
	s_wait_loadcnt 0xb
	;; [unrolled: 2-line block ×3, first 2 shown]
	v_cvt_f32_f16_e32 v62, v62
	v_pk_mul_f32 v[52:53], v[10:11], v[52:53]
	s_wait_loadcnt 0x7
	v_cvt_f32_f16_e32 v63, v63
	s_wait_loadcnt 0x6
	v_cvt_f32_f16_e32 v55, v56
	s_delay_alu instid0(VALU_DEP_1)
	v_pk_fma_f32 v[52:53], v[16:17], v[54:55], v[52:53]
	v_add_nc_u64_e32 v[54:55], s[16:17], v[40:41]
	global_load_u16 v1, v[54:55], off
	s_wait_xcnt 0x0
	v_add_nc_u64_e32 v[54:55], s[16:17], v[34:35]
	s_add_nc_u64 s[16:17], s[16:17], s[14:15]
	global_load_u16 v3, v[54:55], off
	s_wait_loadcnt 0x6
	s_wait_xcnt 0x0
	v_cvt_f32_f16_e32 v55, v58
	v_cvt_f32_f16_e32 v54, v57
	s_wait_loadcnt 0x5
	v_cvt_f32_f16_e32 v57, v59
	v_cvt_f32_f16_e32 v59, v60
	v_cvt_f32_f16_e32 v58, v61
	s_wait_loadcnt 0x4
	v_cvt_f32_f16_e32 v61, v64
	v_pk_mul_f32 v[54:55], v[16:17], v[54:55]
	s_wait_loadcnt 0x3
	v_cvt_f32_f16_e32 v60, v65
	v_pk_fma_f32 v[52:53], v[4:5], v[58:59], v[52:53]
	s_delay_alu instid0(VALU_DEP_1) | instskip(NEXT) | instid1(VALU_DEP_1)
	v_pk_fma_f32 v[52:53], v[6:7], v[62:63], v[52:53]
	v_pk_mul_f32 v[52:53], v[8:9], v[52:53]
	s_wait_loadcnt 0x0
	v_cvt_f32_f16_e32 v56, v3
	s_delay_alu instid0(VALU_DEP_1) | instskip(SKIP_3) | instid1(VALU_DEP_4)
	v_pk_fma_f32 v[54:55], v[10:11], v[56:57], v[54:55]
	v_cvt_f32_f16_e32 v57, v67
	v_cvt_f32_f16_e32 v56, v1
	v_add_f32_e32 v1, v52, v53
	v_pk_fma_f32 v[54:55], v[4:5], v[60:61], v[54:55]
	s_delay_alu instid0(VALU_DEP_1) | instskip(NEXT) | instid1(VALU_DEP_1)
	v_pk_fma_f32 v[54:55], v[6:7], v[56:57], v[54:55]
	v_pk_mul_f32 v[54:55], v[12:13], v[54:55]
	s_delay_alu instid0(VALU_DEP_1) | instskip(NEXT) | instid1(VALU_DEP_1)
	v_add_f32_e32 v1, v54, v1
	v_add_f32_e32 v1, v55, v1
	s_delay_alu instid0(VALU_DEP_1)
	v_cvt_f16_f32_e32 v1, v1
	global_store_b16 v[50:51], v1, off
	s_wait_xcnt 0x0
	v_add_nc_u64_e32 v[50:51], s[10:11], v[50:51]
	s_cbranch_scc1 .LBB5_6
	s_branch .LBB5_4
.LBB5_7:
	s_mov_b32 s2, 0
.LBB5_8:
	s_delay_alu instid0(SALU_CYCLE_1)
	s_and_not1_b32 vcc_lo, exec_lo, s2
	s_cbranch_vccnz .LBB5_14
; %bb.9:
	s_and_not1_b32 vcc_lo, exec_lo, s5
	s_cbranch_vccnz .LBB5_14
; %bb.10:
	s_clause 0x1
	s_load_b256 s[8:15], s[0:1], 0x38
	s_load_b256 s[16:23], s[0:1], 0x80
	v_dual_ashrrev_i32 v1, 31, v0 :: v_dual_ashrrev_i32 v3, 31, v2
	s_cmp_gt_i32 s6, 0
	s_mov_b32 s5, 0
	s_cselect_b32 s7, -1, 0
	s_wait_kmcnt 0x0
	v_mul_u64_e32 v[4:5], s[12:13], v[0:1]
	v_mul_u64_e32 v[0:1], s[20:21], v[0:1]
	v_mul_u64_e32 v[6:7], s[14:15], v[2:3]
	v_mul_u64_e32 v[2:3], s[22:23], v[2:3]
	s_clause 0x1
	s_load_b64 s[2:3], s[0:1], 0x10
	s_load_b64 s[12:13], s[0:1], 0x58
	s_wait_xcnt 0x0
	s_lshl_b64 s[0:1], s[16:17], 1
	s_lshl_b64 s[8:9], s[8:9], 1
	;; [unrolled: 1-line block ×3, first 2 shown]
	s_wait_kmcnt 0x0
	s_delay_alu instid0(VALU_DEP_4) | instskip(NEXT) | instid1(VALU_DEP_4)
	v_lshl_add_u64 v[4:5], v[4:5], 1, s[2:3]
	v_lshl_add_u64 v[8:9], v[0:1], 1, s[12:13]
	s_lshl_b64 s[2:3], s[18:19], 1
	s_delay_alu instid0(VALU_DEP_2) | instskip(NEXT) | instid1(VALU_DEP_2)
	v_lshl_add_u64 v[0:1], v[6:7], 1, v[4:5]
	v_lshl_add_u64 v[2:3], v[2:3], 1, v[8:9]
	s_branch .LBB5_12
.LBB5_11:                               ;   in Loop: Header=BB5_12 Depth=1
	v_add_nc_u64_e32 v[2:3], s[0:1], v[2:3]
	v_add_nc_u64_e32 v[0:1], s[8:9], v[0:1]
	s_add_co_i32 s5, s5, 1
	s_delay_alu instid0(SALU_CYCLE_1)
	s_cmp_eq_u32 s5, s4
	s_cbranch_scc1 .LBB5_14
.LBB5_12:                               ; =>This Loop Header: Depth=1
                                        ;     Child Loop BB5_13 Depth 2
	s_delay_alu instid0(VALU_DEP_1) | instskip(NEXT) | instid1(VALU_DEP_2)
	v_mov_b64_e32 v[4:5], v[0:1]
	v_mov_b64_e32 v[6:7], v[2:3]
	s_and_not1_b32 vcc_lo, exec_lo, s7
	s_mov_b32 s12, s6
	s_cbranch_vccnz .LBB5_11
.LBB5_13:                               ;   Parent Loop BB5_12 Depth=1
                                        ; =>  This Inner Loop Header: Depth=2
	global_load_u16 v8, v[4:5], off
	s_wait_xcnt 0x0
	v_add_nc_u64_e32 v[4:5], s[10:11], v[4:5]
	s_add_co_i32 s12, s12, -1
	s_delay_alu instid0(SALU_CYCLE_1)
	s_cmp_eq_u32 s12, 0
	s_wait_loadcnt 0x0
	global_store_b16 v[6:7], v8, off
	s_wait_xcnt 0x0
	v_add_nc_u64_e32 v[6:7], s[2:3], v[6:7]
	s_cbranch_scc0 .LBB5_13
	s_branch .LBB5_11
.LBB5_14:
	s_sendmsg sendmsg(MSG_DEALLOC_VGPRS)
	s_endpgm
	.section	.rodata,"a",@progbits
	.p2align	6, 0x0
	.amdhsa_kernel _ZN2at6native12_GLOBAL__N_128upsample_bicubic2d_out_frameIN3c104HalfEfEEviT0_S5_bN5torch10headeronly6detail27GenericPackedTensorAccessorINS8_14TensorAccessorINS3_8ArrayRefIlEEKT_Lm3ENS7_16DefaultPtrTraitsElEENS_6detail16IndexBoundsCheckILm4ElEESE_Lm4ESF_lEENS9_INSA_ISC_SD_Lm3ESF_lEESJ_SD_Lm4ESF_lEE
		.amdhsa_group_segment_fixed_size 0
		.amdhsa_private_segment_fixed_size 0
		.amdhsa_kernarg_size 416
		.amdhsa_user_sgpr_count 2
		.amdhsa_user_sgpr_dispatch_ptr 0
		.amdhsa_user_sgpr_queue_ptr 0
		.amdhsa_user_sgpr_kernarg_segment_ptr 1
		.amdhsa_user_sgpr_dispatch_id 0
		.amdhsa_user_sgpr_kernarg_preload_length 0
		.amdhsa_user_sgpr_kernarg_preload_offset 0
		.amdhsa_user_sgpr_private_segment_size 0
		.amdhsa_wavefront_size32 1
		.amdhsa_uses_dynamic_stack 0
		.amdhsa_enable_private_segment 0
		.amdhsa_system_sgpr_workgroup_id_x 1
		.amdhsa_system_sgpr_workgroup_id_y 0
		.amdhsa_system_sgpr_workgroup_id_z 0
		.amdhsa_system_sgpr_workgroup_info 0
		.amdhsa_system_vgpr_workitem_id 0
		.amdhsa_next_free_vgpr 68
		.amdhsa_next_free_sgpr 31
		.amdhsa_named_barrier_count 0
		.amdhsa_reserve_vcc 1
		.amdhsa_float_round_mode_32 0
		.amdhsa_float_round_mode_16_64 0
		.amdhsa_float_denorm_mode_32 3
		.amdhsa_float_denorm_mode_16_64 3
		.amdhsa_fp16_overflow 0
		.amdhsa_memory_ordered 1
		.amdhsa_forward_progress 1
		.amdhsa_inst_pref_size 16
		.amdhsa_round_robin_scheduling 0
		.amdhsa_exception_fp_ieee_invalid_op 0
		.amdhsa_exception_fp_denorm_src 0
		.amdhsa_exception_fp_ieee_div_zero 0
		.amdhsa_exception_fp_ieee_overflow 0
		.amdhsa_exception_fp_ieee_underflow 0
		.amdhsa_exception_fp_ieee_inexact 0
		.amdhsa_exception_int_div_zero 0
	.end_amdhsa_kernel
	.section	.text._ZN2at6native12_GLOBAL__N_128upsample_bicubic2d_out_frameIN3c104HalfEfEEviT0_S5_bN5torch10headeronly6detail27GenericPackedTensorAccessorINS8_14TensorAccessorINS3_8ArrayRefIlEEKT_Lm3ENS7_16DefaultPtrTraitsElEENS_6detail16IndexBoundsCheckILm4ElEESE_Lm4ESF_lEENS9_INSA_ISC_SD_Lm3ESF_lEESJ_SD_Lm4ESF_lEE,"axG",@progbits,_ZN2at6native12_GLOBAL__N_128upsample_bicubic2d_out_frameIN3c104HalfEfEEviT0_S5_bN5torch10headeronly6detail27GenericPackedTensorAccessorINS8_14TensorAccessorINS3_8ArrayRefIlEEKT_Lm3ENS7_16DefaultPtrTraitsElEENS_6detail16IndexBoundsCheckILm4ElEESE_Lm4ESF_lEENS9_INSA_ISC_SD_Lm3ESF_lEESJ_SD_Lm4ESF_lEE,comdat
.Lfunc_end5:
	.size	_ZN2at6native12_GLOBAL__N_128upsample_bicubic2d_out_frameIN3c104HalfEfEEviT0_S5_bN5torch10headeronly6detail27GenericPackedTensorAccessorINS8_14TensorAccessorINS3_8ArrayRefIlEEKT_Lm3ENS7_16DefaultPtrTraitsElEENS_6detail16IndexBoundsCheckILm4ElEESE_Lm4ESF_lEENS9_INSA_ISC_SD_Lm3ESF_lEESJ_SD_Lm4ESF_lEE, .Lfunc_end5-_ZN2at6native12_GLOBAL__N_128upsample_bicubic2d_out_frameIN3c104HalfEfEEviT0_S5_bN5torch10headeronly6detail27GenericPackedTensorAccessorINS8_14TensorAccessorINS3_8ArrayRefIlEEKT_Lm3ENS7_16DefaultPtrTraitsElEENS_6detail16IndexBoundsCheckILm4ElEESE_Lm4ESF_lEENS9_INSA_ISC_SD_Lm3ESF_lEESJ_SD_Lm4ESF_lEE
                                        ; -- End function
	.set _ZN2at6native12_GLOBAL__N_128upsample_bicubic2d_out_frameIN3c104HalfEfEEviT0_S5_bN5torch10headeronly6detail27GenericPackedTensorAccessorINS8_14TensorAccessorINS3_8ArrayRefIlEEKT_Lm3ENS7_16DefaultPtrTraitsElEENS_6detail16IndexBoundsCheckILm4ElEESE_Lm4ESF_lEENS9_INSA_ISC_SD_Lm3ESF_lEESJ_SD_Lm4ESF_lEE.num_vgpr, 68
	.set _ZN2at6native12_GLOBAL__N_128upsample_bicubic2d_out_frameIN3c104HalfEfEEviT0_S5_bN5torch10headeronly6detail27GenericPackedTensorAccessorINS8_14TensorAccessorINS3_8ArrayRefIlEEKT_Lm3ENS7_16DefaultPtrTraitsElEENS_6detail16IndexBoundsCheckILm4ElEESE_Lm4ESF_lEENS9_INSA_ISC_SD_Lm3ESF_lEESJ_SD_Lm4ESF_lEE.num_agpr, 0
	.set _ZN2at6native12_GLOBAL__N_128upsample_bicubic2d_out_frameIN3c104HalfEfEEviT0_S5_bN5torch10headeronly6detail27GenericPackedTensorAccessorINS8_14TensorAccessorINS3_8ArrayRefIlEEKT_Lm3ENS7_16DefaultPtrTraitsElEENS_6detail16IndexBoundsCheckILm4ElEESE_Lm4ESF_lEENS9_INSA_ISC_SD_Lm3ESF_lEESJ_SD_Lm4ESF_lEE.numbered_sgpr, 31
	.set _ZN2at6native12_GLOBAL__N_128upsample_bicubic2d_out_frameIN3c104HalfEfEEviT0_S5_bN5torch10headeronly6detail27GenericPackedTensorAccessorINS8_14TensorAccessorINS3_8ArrayRefIlEEKT_Lm3ENS7_16DefaultPtrTraitsElEENS_6detail16IndexBoundsCheckILm4ElEESE_Lm4ESF_lEENS9_INSA_ISC_SD_Lm3ESF_lEESJ_SD_Lm4ESF_lEE.num_named_barrier, 0
	.set _ZN2at6native12_GLOBAL__N_128upsample_bicubic2d_out_frameIN3c104HalfEfEEviT0_S5_bN5torch10headeronly6detail27GenericPackedTensorAccessorINS8_14TensorAccessorINS3_8ArrayRefIlEEKT_Lm3ENS7_16DefaultPtrTraitsElEENS_6detail16IndexBoundsCheckILm4ElEESE_Lm4ESF_lEENS9_INSA_ISC_SD_Lm3ESF_lEESJ_SD_Lm4ESF_lEE.private_seg_size, 0
	.set _ZN2at6native12_GLOBAL__N_128upsample_bicubic2d_out_frameIN3c104HalfEfEEviT0_S5_bN5torch10headeronly6detail27GenericPackedTensorAccessorINS8_14TensorAccessorINS3_8ArrayRefIlEEKT_Lm3ENS7_16DefaultPtrTraitsElEENS_6detail16IndexBoundsCheckILm4ElEESE_Lm4ESF_lEENS9_INSA_ISC_SD_Lm3ESF_lEESJ_SD_Lm4ESF_lEE.uses_vcc, 1
	.set _ZN2at6native12_GLOBAL__N_128upsample_bicubic2d_out_frameIN3c104HalfEfEEviT0_S5_bN5torch10headeronly6detail27GenericPackedTensorAccessorINS8_14TensorAccessorINS3_8ArrayRefIlEEKT_Lm3ENS7_16DefaultPtrTraitsElEENS_6detail16IndexBoundsCheckILm4ElEESE_Lm4ESF_lEENS9_INSA_ISC_SD_Lm3ESF_lEESJ_SD_Lm4ESF_lEE.uses_flat_scratch, 0
	.set _ZN2at6native12_GLOBAL__N_128upsample_bicubic2d_out_frameIN3c104HalfEfEEviT0_S5_bN5torch10headeronly6detail27GenericPackedTensorAccessorINS8_14TensorAccessorINS3_8ArrayRefIlEEKT_Lm3ENS7_16DefaultPtrTraitsElEENS_6detail16IndexBoundsCheckILm4ElEESE_Lm4ESF_lEENS9_INSA_ISC_SD_Lm3ESF_lEESJ_SD_Lm4ESF_lEE.has_dyn_sized_stack, 0
	.set _ZN2at6native12_GLOBAL__N_128upsample_bicubic2d_out_frameIN3c104HalfEfEEviT0_S5_bN5torch10headeronly6detail27GenericPackedTensorAccessorINS8_14TensorAccessorINS3_8ArrayRefIlEEKT_Lm3ENS7_16DefaultPtrTraitsElEENS_6detail16IndexBoundsCheckILm4ElEESE_Lm4ESF_lEENS9_INSA_ISC_SD_Lm3ESF_lEESJ_SD_Lm4ESF_lEE.has_recursion, 0
	.set _ZN2at6native12_GLOBAL__N_128upsample_bicubic2d_out_frameIN3c104HalfEfEEviT0_S5_bN5torch10headeronly6detail27GenericPackedTensorAccessorINS8_14TensorAccessorINS3_8ArrayRefIlEEKT_Lm3ENS7_16DefaultPtrTraitsElEENS_6detail16IndexBoundsCheckILm4ElEESE_Lm4ESF_lEENS9_INSA_ISC_SD_Lm3ESF_lEESJ_SD_Lm4ESF_lEE.has_indirect_call, 0
	.section	.AMDGPU.csdata,"",@progbits
; Kernel info:
; codeLenInByte = 2024
; TotalNumSgprs: 33
; NumVgprs: 68
; ScratchSize: 0
; MemoryBound: 0
; FloatMode: 240
; IeeeMode: 1
; LDSByteSize: 0 bytes/workgroup (compile time only)
; SGPRBlocks: 0
; VGPRBlocks: 4
; NumSGPRsForWavesPerEU: 33
; NumVGPRsForWavesPerEU: 68
; NamedBarCnt: 0
; Occupancy: 12
; WaveLimiterHint : 1
; COMPUTE_PGM_RSRC2:SCRATCH_EN: 0
; COMPUTE_PGM_RSRC2:USER_SGPR: 2
; COMPUTE_PGM_RSRC2:TRAP_HANDLER: 0
; COMPUTE_PGM_RSRC2:TGID_X_EN: 1
; COMPUTE_PGM_RSRC2:TGID_Y_EN: 0
; COMPUTE_PGM_RSRC2:TGID_Z_EN: 0
; COMPUTE_PGM_RSRC2:TIDIG_COMP_CNT: 0
	.section	.text._ZN2at6native12_GLOBAL__N_137upsample_bicubic2d_out_frame_parallelIN3c108BFloat16EfEEviT0_S5_bN5torch10headeronly6detail27GenericPackedTensorAccessorINS8_14TensorAccessorINS3_8ArrayRefIlEEKT_Lm3ENS7_16DefaultPtrTraitsElEENS_6detail16IndexBoundsCheckILm4ElEESE_Lm4ESF_lEENS9_INSA_ISC_SD_Lm3ESF_lEESJ_SD_Lm4ESF_lEE,"axG",@progbits,_ZN2at6native12_GLOBAL__N_137upsample_bicubic2d_out_frame_parallelIN3c108BFloat16EfEEviT0_S5_bN5torch10headeronly6detail27GenericPackedTensorAccessorINS8_14TensorAccessorINS3_8ArrayRefIlEEKT_Lm3ENS7_16DefaultPtrTraitsElEENS_6detail16IndexBoundsCheckILm4ElEESE_Lm4ESF_lEENS9_INSA_ISC_SD_Lm3ESF_lEESJ_SD_Lm4ESF_lEE,comdat
	.globl	_ZN2at6native12_GLOBAL__N_137upsample_bicubic2d_out_frame_parallelIN3c108BFloat16EfEEviT0_S5_bN5torch10headeronly6detail27GenericPackedTensorAccessorINS8_14TensorAccessorINS3_8ArrayRefIlEEKT_Lm3ENS7_16DefaultPtrTraitsElEENS_6detail16IndexBoundsCheckILm4ElEESE_Lm4ESF_lEENS9_INSA_ISC_SD_Lm3ESF_lEESJ_SD_Lm4ESF_lEE ; -- Begin function _ZN2at6native12_GLOBAL__N_137upsample_bicubic2d_out_frame_parallelIN3c108BFloat16EfEEviT0_S5_bN5torch10headeronly6detail27GenericPackedTensorAccessorINS8_14TensorAccessorINS3_8ArrayRefIlEEKT_Lm3ENS7_16DefaultPtrTraitsElEENS_6detail16IndexBoundsCheckILm4ElEESE_Lm4ESF_lEENS9_INSA_ISC_SD_Lm3ESF_lEESJ_SD_Lm4ESF_lEE
	.p2align	8
	.type	_ZN2at6native12_GLOBAL__N_137upsample_bicubic2d_out_frame_parallelIN3c108BFloat16EfEEviT0_S5_bN5torch10headeronly6detail27GenericPackedTensorAccessorINS8_14TensorAccessorINS3_8ArrayRefIlEEKT_Lm3ENS7_16DefaultPtrTraitsElEENS_6detail16IndexBoundsCheckILm4ElEESE_Lm4ESF_lEENS9_INSA_ISC_SD_Lm3ESF_lEESJ_SD_Lm4ESF_lEE,@function
_ZN2at6native12_GLOBAL__N_137upsample_bicubic2d_out_frame_parallelIN3c108BFloat16EfEEviT0_S5_bN5torch10headeronly6detail27GenericPackedTensorAccessorINS8_14TensorAccessorINS3_8ArrayRefIlEEKT_Lm3ENS7_16DefaultPtrTraitsElEENS_6detail16IndexBoundsCheckILm4ElEESE_Lm4ESF_lEENS9_INSA_ISC_SD_Lm3ESF_lEESJ_SD_Lm4ESF_lEE: ; @_ZN2at6native12_GLOBAL__N_137upsample_bicubic2d_out_frame_parallelIN3c108BFloat16EfEEviT0_S5_bN5torch10headeronly6detail27GenericPackedTensorAccessorINS8_14TensorAccessorINS3_8ArrayRefIlEEKT_Lm3ENS7_16DefaultPtrTraitsElEENS_6detail16IndexBoundsCheckILm4ElEESE_Lm4ESF_lEENS9_INSA_ISC_SD_Lm3ESF_lEESJ_SD_Lm4ESF_lEE
; %bb.0:
	s_clause 0x1
	s_load_b32 s3, s[0:1], 0xac
	s_load_b128 s[4:7], s[0:1], 0x0
	s_bfe_u32 s2, ttmp6, 0x4000c
	s_and_b32 s8, ttmp6, 15
	s_add_co_i32 s9, s2, 1
	s_getreg_b32 s2, hwreg(HW_REG_IB_STS2, 6, 4)
	s_mul_i32 s9, ttmp9, s9
	s_delay_alu instid0(SALU_CYCLE_1) | instskip(SKIP_4) | instid1(SALU_CYCLE_1)
	s_add_co_i32 s8, s8, s9
	s_wait_kmcnt 0x0
	s_and_b32 s3, s3, 0xffff
	s_cmp_eq_u32 s2, 0
	s_cselect_b32 s8, ttmp9, s8
	v_mad_u32 v1, s8, s3, v0
	s_mov_b32 s3, exec_lo
	s_delay_alu instid0(VALU_DEP_1)
	v_cmpx_gt_i32_e64 s4, v1
	s_cbranch_execz .LBB6_10
; %bb.1:
	s_clause 0x2
	s_load_b128 s[8:11], s[0:1], 0x70
	s_load_b128 s[20:23], s[0:1], 0x20
	s_load_b32 s31, s[0:1], 0x30
	s_add_nc_u64 s[24:25], s[0:1], 0xa0
	s_wait_kmcnt 0x0
	s_abs_i32 s3, s10
	s_delay_alu instid0(SALU_CYCLE_1) | instskip(SKIP_1) | instid1(SALU_CYCLE_2)
	s_cvt_f32_u32 s4, s3
	s_sub_co_i32 s9, 0, s3
	v_rcp_iflag_f32_e32 v0, s4
	v_nop
	s_delay_alu instid0(TRANS32_DEP_1) | instskip(SKIP_2) | instid1(VALU_DEP_1)
	v_readfirstlane_b32 s4, v0
	v_sub_nc_u32_e32 v0, 0, v1
	s_mul_f32 s4, s4, 0x4f7ffffe
	v_max_i32_e32 v0, v1, v0
	s_delay_alu instid0(SALU_CYCLE_2) | instskip(NEXT) | instid1(SALU_CYCLE_3)
	s_cvt_u32_f32 s4, s4
	s_mul_i32 s9, s9, s4
	s_delay_alu instid0(SALU_CYCLE_1) | instskip(NEXT) | instid1(SALU_CYCLE_1)
	s_mul_hi_u32 s9, s4, s9
	s_add_co_i32 s4, s4, s9
	s_cmp_lg_u32 s22, s8
	v_mul_hi_u32 v2, v0, s4
	s_load_b32 s4, s[0:1], 0x18
	s_delay_alu instid0(VALU_DEP_1) | instskip(SKIP_2) | instid1(VALU_DEP_1)
	v_mul_lo_u32 v3, v2, s3
	s_wait_kmcnt 0x0
	s_mul_i32 s21, s20, s4
	v_dual_sub_nc_u32 v0, v0, v3 :: v_dual_add_nc_u32 v3, 1, v2
	s_delay_alu instid0(VALU_DEP_1) | instskip(NEXT) | instid1(VALU_DEP_2)
	v_cmp_le_u32_e32 vcc_lo, s3, v0
	v_dual_cndmask_b32 v2, v2, v3, vcc_lo :: v_dual_bitop2_b32 v3, s10, v1 bitop3:0x14
	v_subrev_nc_u32_e32 v4, s3, v0
	s_delay_alu instid0(VALU_DEP_1) | instskip(NEXT) | instid1(VALU_DEP_1)
	v_dual_cndmask_b32 v0, v0, v4, vcc_lo :: v_dual_add_nc_u32 v4, 1, v2
	v_cmp_le_u32_e32 vcc_lo, s3, v0
	s_delay_alu instid0(VALU_DEP_4)
	v_ashrrev_i32_e32 v3, 31, v3
	s_cselect_b32 s3, -1, 0
	s_cmp_lg_u32 s31, s10
	v_cndmask_b32_e32 v0, v2, v4, vcc_lo
	s_cselect_b32 s8, -1, 0
	s_bfe_u32 s11, ttmp6, 0x40014
	s_lshr_b32 s9, ttmp7, 16
	s_add_co_i32 s11, s11, 1
	v_xor_b32_e32 v0, v0, v3
	s_bfe_u32 s12, ttmp6, 0x40008
	s_mul_i32 s11, s9, s11
	s_or_b32 s3, s8, s3
	s_add_co_i32 s12, s12, s11
	v_sub_nc_u32_e32 v0, v0, v3
	s_cmp_eq_u32 s2, 0
	s_cselect_b32 s23, s9, s12
	s_delay_alu instid0(VALU_DEP_1)
	v_mul_lo_u32 v2, v0, s10
	s_cmp_lt_i32 s23, s21
	s_cselect_b32 s30, -1, 0
	s_and_b32 vcc_lo, exec_lo, s3
	v_cndmask_b32_e64 v3, 0, 1, s30
	s_mov_b32 s3, -1
	s_delay_alu instid0(VALU_DEP_1) | instskip(NEXT) | instid1(VALU_DEP_3)
	v_cmp_ne_u32_e64 s2, 1, v3
	v_sub_nc_u32_e32 v2, v1, v2
	s_cbranch_vccz .LBB6_6
; %bb.2:
	s_and_b32 vcc_lo, exec_lo, s2
	s_cbranch_vccnz .LBB6_5
; %bb.3:
	v_cvt_f32_i32_e32 v1, v0
	v_cvt_f32_i32_e32 v3, v2
	s_bitcmp1_b32 s7, 0
	s_mov_b32 s2, 0xbf400000
	s_cselect_b32 vcc_lo, -1, 0
	s_delay_alu instid0(VALU_DEP_1) | instskip(SKIP_2) | instid1(VALU_DEP_2)
	v_dual_add_f32 v4, 0.5, v1 :: v_dual_add_f32 v5, 0.5, v3
	v_dual_mul_f32 v1, s5, v1 :: v_dual_mul_f32 v3, s6, v3
	s_add_co_i32 s31, s31, -1
	v_fma_f32 v4, s5, v4, -0.5
	s_delay_alu instid0(VALU_DEP_3) | instskip(SKIP_3) | instid1(VALU_DEP_1)
	v_fma_f32 v5, s6, v5, -0.5
	s_load_b256 s[4:11], s[0:1], 0x38
	s_add_co_i32 s34, s22, -1
	s_load_b256 s[12:19], s[0:1], 0x80
	v_dual_cndmask_b32 v4, v4, v1 :: v_dual_cndmask_b32 v5, v5, v3
	s_mov_b32 s33, 0x3fa00000
	s_abs_i32 s22, s20
	v_mov_b64_e32 v[42:43], 0x3f80000040400000
	s_delay_alu instid0(VALU_DEP_2)
	v_floor_f32_e32 v3, v4
	v_floor_f32_e32 v1, v5
	s_clause 0x1
	s_load_b64 s[26:27], s[0:1], 0x10
	s_load_b64 s[28:29], s[0:1], 0x58
	v_mov_b64_e32 v[24:25], 0x404000003f800000
	s_mov_b32 s3, 0
	v_cvt_i32_f32_e32 v8, v3
	v_cvt_i32_f32_e32 v6, v1
	v_dual_mov_b32 v17, 0 :: v_dual_ashrrev_i32 v1, 31, v0
	s_delay_alu instid0(VALU_DEP_3) | instskip(NEXT) | instid1(VALU_DEP_3)
	v_dual_ashrrev_i32 v3, 31, v2 :: v_dual_add_nc_u32 v11, -1, v8
	v_dual_add_nc_u32 v10, 1, v6 :: v_dual_add_nc_u32 v7, -1, v6
	v_cvt_f32_i32_e32 v9, v6
	v_add_nc_u32_e32 v12, 2, v8
	s_delay_alu instid0(VALU_DEP_3) | instskip(SKIP_1) | instid1(VALU_DEP_4)
	v_minmax_i32 v16, v7, s31, 0
	v_cvt_f32_i32_e32 v7, v8
	v_dual_sub_f32 v23, v5, v9 :: v_dual_add_nc_u32 v9, 1, v8
	s_wait_kmcnt 0x0
	s_delay_alu instid0(VALU_DEP_3) | instskip(SKIP_1) | instid1(VALU_DEP_3)
	v_mul_u64_e32 v[28:29], s[10:11], v[16:17]
	v_minmax_i32 v16, v6, s31, 0
	v_dual_add_nc_u32 v6, 2, v6 :: v_dual_add_f32 v26, 1.0, v23
	s_delay_alu instid0(VALU_DEP_2) | instskip(SKIP_3) | instid1(VALU_DEP_3)
	v_mul_u64_e32 v[30:31], s[10:11], v[16:17]
	v_minmax_i32 v16, v10, s31, 0
	v_sub_f32_e32 v10, 1.0, v23
	v_sub_f32_e32 v20, v4, v7
	v_mul_u64_e32 v[32:33], s[10:11], v[16:17]
	v_minmax_i32 v16, v6, s31, 0
	s_delay_alu instid0(VALU_DEP_4) | instskip(SKIP_2) | instid1(VALU_DEP_3)
	v_fmaak_f32 v7, s33, v10, 0xc0100000
	v_add_f32_e32 v19, 1.0, v10
	s_sub_co_i32 s31, 0, s20
	v_mul_u64_e32 v[36:37], s[10:11], v[16:17]
	v_minmax_i32 v16, v11, s34, 0
	v_fmaak_f32 v11, s2, v26, 0x40700000
	v_dual_fmaak_f32 v6, s33, v23, 0xc0100000 :: v_dual_add_f32 v35, 1.0, v20
	v_fmaak_f32 v18, s33, v20, 0xc0100000
	s_delay_alu instid0(VALU_DEP_4) | instskip(SKIP_1) | instid1(VALU_DEP_4)
	v_mul_u64_e32 v[4:5], s[8:9], v[16:17]
	v_minmax_i32 v16, v8, s34, 0
	v_dual_sub_f32 v38, 1.0, v20 :: v_dual_mul_f32 v27, v23, v6
	v_fmaak_f32 v8, s2, v35, 0x40700000
	v_mul_f32_e32 v13, v10, v7
	s_delay_alu instid0(VALU_DEP_4) | instskip(SKIP_1) | instid1(VALU_DEP_4)
	v_mul_u64_e32 v[6:7], s[8:9], v[16:17]
	v_minmax_i32 v16, v9, s34, 0
	v_dual_fmaak_f32 v22, v26, v11, 0xc0c00000 :: v_dual_fmaak_f32 v21, v35, v8, 0xc0c00000
	v_dual_add_f32 v41, 1.0, v38 :: v_dual_fmaak_f32 v14, s2, v19, 0x40700000
	v_fma_f32 v8, v10, v13, 1.0
	s_delay_alu instid0(VALU_DEP_4)
	v_mul_u64_e32 v[10:11], s[8:9], v[16:17]
	v_minmax_i32 v16, v12, s34, 0
	v_mul_u64_e32 v[12:13], s[16:17], v[0:1]
	v_fmaak_f32 v39, s2, v41, 0x40700000
	v_fmaak_f32 v9, v19, v14, 0xc0c00000
	v_mul_u64_e32 v[14:15], s[18:19], v[2:3]
	v_mul_u64_e32 v[16:17], s[8:9], v[16:17]
	s_cvt_f32_u32 s10, s22
	s_load_b32 s18, s[24:25], 0x8
	v_pk_fma_f32 v[22:23], v[22:23], v[26:27], v[42:43]
	v_fmaak_f32 v3, s33, v38, 0xc0100000
	v_rcp_iflag_f32_e32 v1, s10
	v_dual_mul_f32 v34, v20, v18 :: v_dual_fmaak_f32 v39, v41, v39, 0xc0c00000
	s_delay_alu instid0(VALU_DEP_2) | instskip(SKIP_1) | instid1(TRANS32_DEP_1)
	v_dual_mov_b32 v26, v23 :: v_dual_mul_f32 v40, v38, v3
	v_dual_fmaak_f32 v18, v19, v9, 0x40400000 :: v_dual_mov_b32 v9, v8
	v_readfirstlane_b32 s2, v1
	s_sub_co_i32 s8, 0, s22
	v_pk_fma_f32 v[20:21], v[20:21], v[34:35], v[24:25]
	v_lshlrev_b64_e32 v[28:29], 1, v[28:29]
	v_lshlrev_b64_e32 v[30:31], 1, v[30:31]
	s_mul_f32 s2, s2, 0x4f7ffffe
	v_lshlrev_b64_e32 v[32:33], 1, v[32:33]
	v_lshlrev_b64_e32 v[34:35], 1, v[36:37]
	v_pk_fma_f32 v[24:25], v[40:41], v[38:39], v[24:25]
	s_cvt_u32_f32 s2, s2
	v_dual_mov_b32 v19, v18 :: v_dual_mov_b32 v27, v22
	s_ashr_i32 s19, s20, 31
	s_delay_alu instid0(SALU_CYCLE_1)
	s_mul_i32 s8, s8, s2
	s_mov_b32 s9, s3
	s_mul_hi_u32 s8, s2, s8
	s_mov_b32 s33, s23
	s_add_co_i32 s8, s2, s8
.LBB6_4:                                ; =>This Inner Loop Header: Depth=1
	s_abs_i32 s2, s33
	s_ashr_i32 s16, s33, 31
	s_mul_u64 s[10:11], s[2:3], s[8:9]
	s_xor_b32 s10, s16, s19
	s_mul_i32 s16, s11, s22
	s_add_co_i32 s17, s11, 1
	s_sub_co_i32 s2, s2, s16
	s_delay_alu instid0(SALU_CYCLE_1)
	s_sub_co_i32 s16, s2, s22
	s_cmp_ge_u32 s2, s22
	s_cselect_b32 s11, s17, s11
	s_cselect_b32 s2, s16, s2
	s_add_co_i32 s16, s11, 1
	s_cmp_ge_u32 s2, s22
	s_cselect_b32 s2, s16, s11
	s_delay_alu instid0(SALU_CYCLE_1) | instskip(NEXT) | instid1(SALU_CYCLE_1)
	s_xor_b32 s2, s2, s10
	s_sub_co_i32 s10, s2, s10
	s_delay_alu instid0(SALU_CYCLE_1)
	s_mul_i32 s2, s31, s10
	s_ashr_i32 s11, s10, 31
	s_add_co_i32 s16, s33, s2
	s_mul_u64 s[34:35], s[4:5], s[10:11]
	s_ashr_i32 s17, s16, 31
	s_lshl_b64 s[34:35], s[34:35], 1
	s_mul_u64 s[36:37], s[6:7], s[16:17]
	s_add_nc_u64 s[34:35], s[26:27], s[34:35]
	s_lshl_b64 s[36:37], s[36:37], 1
	s_mul_u64 s[10:11], s[12:13], s[10:11]
	s_add_nc_u64 s[34:35], s[34:35], s[36:37]
	s_lshl_b64 s[10:11], s[10:11], 1
	s_wait_xcnt 0x0
	v_lshl_add_u64 v[36:37], v[6:7], 1, s[34:35]
	v_lshl_add_u64 v[38:39], v[4:5], 1, s[34:35]
	v_lshl_add_u64 v[40:41], v[10:11], 1, s[34:35]
	v_lshl_add_u64 v[42:43], v[16:17], 1, s[34:35]
	s_mul_u64 s[16:17], s[14:15], s[16:17]
	v_add_nc_u64_e32 v[44:45], v[36:37], v[28:29]
	v_add_nc_u64_e32 v[48:49], v[38:39], v[30:31]
	;; [unrolled: 1-line block ×7, first 2 shown]
	s_clause 0x3
	global_load_u16 v1, v[44:45], off
	global_load_u16 v3, v[48:49], off
	;; [unrolled: 1-line block ×4, first 2 shown]
	v_add_nc_u64_e32 v[38:39], v[38:39], v[34:35]
	v_add_nc_u64_e32 v[56:57], v[40:41], v[30:31]
	;; [unrolled: 1-line block ×5, first 2 shown]
	s_wait_xcnt 0x3
	v_add_nc_u64_e32 v[44:45], v[42:43], v[32:33]
	s_wait_xcnt 0x2
	v_add_nc_u64_e32 v[48:49], v[40:41], v[32:33]
	v_add_nc_u64_e32 v[40:41], v[40:41], v[34:35]
	;; [unrolled: 1-line block ×3, first 2 shown]
	s_clause 0xb
	global_load_u16 v50, v[52:53], off
	global_load_u16 v51, v[36:37], off
	; meta instruction
	; meta instruction
	global_load_u16 v52, v[38:39], off
	global_load_u16 v53, v[46:47], off
	;; [unrolled: 1-line block ×4, first 2 shown]
	; meta instruction
	; meta instruction
	;; [unrolled: 1-line block ×4, first 2 shown]
	global_load_u16 v46, v[60:61], off
	global_load_u16 v56, v[44:45], off
	;; [unrolled: 1-line block ×6, first 2 shown]
	s_add_nc_u64 s[10:11], s[28:29], s[10:11]
	s_lshl_b64 s[16:17], s[16:17], 1
	s_wait_kmcnt 0x0
	s_add_co_i32 s33, s33, s18
	s_add_nc_u64 s[10:11], s[10:11], s[16:17]
	s_cmp_lt_i32 s33, s21
	s_wait_loadcnt 0xa
	s_wait_xcnt 0x1
	v_dual_lshlrev_b32 v41, 16, v50 :: v_dual_lshlrev_b32 v44, 16, v51
	v_dual_lshlrev_b32 v36, 16, v1 :: v_dual_lshlrev_b32 v37, 16, v3
	s_wait_loadcnt 0x8
	v_dual_lshlrev_b32 v39, 16, v53 :: v_dual_lshlrev_b32 v38, 16, v64
	s_wait_loadcnt 0x6
	v_dual_lshlrev_b32 v43, 16, v55 :: v_dual_lshlrev_b32 v42, 16, v54
	v_pk_mul_f32 v[36:37], v[22:23], v[36:37]
	v_dual_lshlrev_b32 v40, 16, v65 :: v_dual_lshlrev_b32 v45, 16, v52
	s_wait_loadcnt 0x5
	v_lshlrev_b32_e32 v47, 16, v46
	v_pk_mul_f32 v[42:43], v[26:27], v[42:43]
	v_pk_fma_f32 v[36:37], v[26:27], v[38:39], v[36:37]
	s_wait_loadcnt 0x3
	v_dual_lshlrev_b32 v39, 16, v56 :: v_dual_lshlrev_b32 v38, 16, v57
	s_wait_loadcnt 0x0
	v_lshlrev_b32_e32 v46, 16, v66
	v_pk_fma_f32 v[36:37], v[8:9], v[40:41], v[36:37]
	v_dual_lshlrev_b32 v41, 16, v58 :: v_dual_lshlrev_b32 v40, 16, v59
	s_delay_alu instid0(VALU_DEP_3) | instskip(NEXT) | instid1(VALU_DEP_3)
	v_pk_fma_f32 v[42:43], v[22:23], v[46:47], v[42:43]
	v_pk_fma_f32 v[36:37], v[18:19], v[44:45], v[36:37]
	s_delay_alu instid0(VALU_DEP_2) | instskip(NEXT) | instid1(VALU_DEP_2)
	v_pk_fma_f32 v[38:39], v[8:9], v[38:39], v[42:43]
	v_pk_mul_f32 v[36:37], v[20:21], v[36:37]
	s_delay_alu instid0(VALU_DEP_2) | instskip(NEXT) | instid1(VALU_DEP_2)
	v_pk_fma_f32 v[38:39], v[18:19], v[40:41], v[38:39]
	v_add_f32_e32 v1, v36, v37
	v_lshl_add_u64 v[36:37], v[12:13], 1, s[10:11]
	s_delay_alu instid0(VALU_DEP_3) | instskip(NEXT) | instid1(VALU_DEP_2)
	v_pk_mul_f32 v[38:39], v[24:25], v[38:39]
	v_lshl_add_u64 v[36:37], v[14:15], 1, v[36:37]
	s_delay_alu instid0(VALU_DEP_2) | instskip(NEXT) | instid1(VALU_DEP_1)
	v_add_f32_e32 v1, v38, v1
	v_add_f32_e32 v1, v39, v1
	s_delay_alu instid0(VALU_DEP_1) | instskip(SKIP_1) | instid1(VALU_DEP_2)
	v_bfe_u32 v3, v1, 16, 1
	v_cmp_o_f32_e32 vcc_lo, v1, v1
	v_add3_u32 v3, v1, v3, 0x7fff
	s_delay_alu instid0(VALU_DEP_1) | instskip(NEXT) | instid1(VALU_DEP_1)
	v_lshrrev_b32_e32 v3, 16, v3
	v_cndmask_b32_e32 v1, 0x7fc0, v3, vcc_lo
	global_store_b16 v[36:37], v1, off
	s_cbranch_scc1 .LBB6_4
.LBB6_5:
	s_mov_b32 s3, 0
.LBB6_6:
	s_delay_alu instid0(SALU_CYCLE_1)
	s_and_not1_b32 vcc_lo, exec_lo, s3
	s_cbranch_vccnz .LBB6_10
; %bb.7:
	s_and_not1_b32 vcc_lo, exec_lo, s30
	s_cbranch_vccnz .LBB6_10
; %bb.8:
	s_clause 0x1
	s_load_b256 s[4:11], s[0:1], 0x38
	s_load_b256 s[12:19], s[0:1], 0x80
	v_dual_ashrrev_i32 v1, 31, v0 :: v_dual_ashrrev_i32 v3, 31, v2
	s_abs_i32 s22, s20
	s_delay_alu instid0(SALU_CYCLE_1) | instskip(NEXT) | instid1(SALU_CYCLE_3)
	s_cvt_f32_u32 s2, s22
	v_rcp_iflag_f32_e32 v8, s2
	s_wait_kmcnt 0x0
	v_mul_u64_e32 v[4:5], s[8:9], v[0:1]
	v_mul_u64_e32 v[6:7], s[10:11], v[2:3]
	v_mul_u64_e32 v[0:1], s[16:17], v[0:1]
	v_mul_u64_e32 v[2:3], s[18:19], v[2:3]
	s_clause 0x1
	s_load_b64 s[2:3], s[0:1], 0x10
	s_load_b64 s[8:9], s[0:1], 0x58
	s_load_b32 s16, s[24:25], 0x8
	s_wait_xcnt 0x0
	v_readfirstlane_b32 s0, v8
	s_sub_co_i32 s1, 0, s22
	s_ashr_i32 s17, s20, 31
	s_sub_co_i32 s18, 0, s20
	s_mul_f32 s0, s0, 0x4f7ffffe
	s_delay_alu instid0(SALU_CYCLE_3) | instskip(NEXT) | instid1(SALU_CYCLE_3)
	s_cvt_u32_f32 s0, s0
	s_mul_i32 s1, s1, s0
	s_delay_alu instid0(SALU_CYCLE_1)
	s_mul_hi_u32 s10, s0, s1
	s_mov_b32 s1, 0
	s_add_co_i32 s10, s0, s10
	s_mov_b32 s11, s1
.LBB6_9:                                ; =>This Inner Loop Header: Depth=1
	s_abs_i32 s0, s23
	s_ashr_i32 s19, s23, 31
	s_mul_u64 s[24:25], s[0:1], s[10:11]
	s_xor_b32 s19, s19, s17
	s_mul_i32 s20, s25, s22
	s_delay_alu instid0(SALU_CYCLE_1)
	s_sub_co_i32 s0, s0, s20
	s_add_co_i32 s20, s25, 1
	s_sub_co_i32 s24, s0, s22
	s_cmp_ge_u32 s0, s22
	s_cselect_b32 s20, s20, s25
	s_cselect_b32 s0, s24, s0
	s_add_co_i32 s24, s20, 1
	s_cmp_ge_u32 s0, s22
	s_cselect_b32 s0, s24, s20
	s_delay_alu instid0(SALU_CYCLE_1) | instskip(NEXT) | instid1(SALU_CYCLE_1)
	s_xor_b32 s0, s0, s19
	s_sub_co_i32 s24, s0, s19
	s_delay_alu instid0(SALU_CYCLE_1)
	s_mul_i32 s0, s18, s24
	s_ashr_i32 s25, s24, 31
	s_add_co_i32 s26, s23, s0
	s_mul_u64 s[28:29], s[4:5], s[24:25]
	s_ashr_i32 s27, s26, 31
	s_lshl_b64 s[28:29], s[28:29], 1
	s_mul_u64 s[30:31], s[6:7], s[26:27]
	s_wait_kmcnt 0x0
	s_add_nc_u64 s[28:29], s[2:3], s[28:29]
	s_lshl_b64 s[30:31], s[30:31], 1
	s_mul_u64 s[24:25], s[12:13], s[24:25]
	s_add_nc_u64 s[28:29], s[28:29], s[30:31]
	s_lshl_b64 s[24:25], s[24:25], 1
	s_wait_xcnt 0x0
	v_lshl_add_u64 v[8:9], v[4:5], 1, s[28:29]
	s_mul_u64 s[26:27], s[14:15], s[26:27]
	s_add_nc_u64 s[24:25], s[8:9], s[24:25]
	s_lshl_b64 s[26:27], s[26:27], 1
	s_add_co_i32 s23, s23, s16
	v_lshl_add_u64 v[8:9], v[6:7], 1, v[8:9]
	s_add_nc_u64 s[24:25], s[24:25], s[26:27]
	s_cmp_ge_i32 s23, s21
	global_load_u16 v10, v[8:9], off
	s_wait_xcnt 0x0
	v_lshl_add_u64 v[8:9], v[0:1], 1, s[24:25]
	s_delay_alu instid0(VALU_DEP_1)
	v_lshl_add_u64 v[8:9], v[2:3], 1, v[8:9]
	s_wait_loadcnt 0x0
	global_store_b16 v[8:9], v10, off
	s_cbranch_scc0 .LBB6_9
.LBB6_10:
	s_sendmsg sendmsg(MSG_DEALLOC_VGPRS)
	s_endpgm
	.section	.rodata,"a",@progbits
	.p2align	6, 0x0
	.amdhsa_kernel _ZN2at6native12_GLOBAL__N_137upsample_bicubic2d_out_frame_parallelIN3c108BFloat16EfEEviT0_S5_bN5torch10headeronly6detail27GenericPackedTensorAccessorINS8_14TensorAccessorINS3_8ArrayRefIlEEKT_Lm3ENS7_16DefaultPtrTraitsElEENS_6detail16IndexBoundsCheckILm4ElEESE_Lm4ESF_lEENS9_INSA_ISC_SD_Lm3ESF_lEESJ_SD_Lm4ESF_lEE
		.amdhsa_group_segment_fixed_size 0
		.amdhsa_private_segment_fixed_size 0
		.amdhsa_kernarg_size 416
		.amdhsa_user_sgpr_count 2
		.amdhsa_user_sgpr_dispatch_ptr 0
		.amdhsa_user_sgpr_queue_ptr 0
		.amdhsa_user_sgpr_kernarg_segment_ptr 1
		.amdhsa_user_sgpr_dispatch_id 0
		.amdhsa_user_sgpr_kernarg_preload_length 0
		.amdhsa_user_sgpr_kernarg_preload_offset 0
		.amdhsa_user_sgpr_private_segment_size 0
		.amdhsa_wavefront_size32 1
		.amdhsa_uses_dynamic_stack 0
		.amdhsa_enable_private_segment 0
		.amdhsa_system_sgpr_workgroup_id_x 1
		.amdhsa_system_sgpr_workgroup_id_y 0
		.amdhsa_system_sgpr_workgroup_id_z 1
		.amdhsa_system_sgpr_workgroup_info 0
		.amdhsa_system_vgpr_workitem_id 0
		.amdhsa_next_free_vgpr 67
		.amdhsa_next_free_sgpr 38
		.amdhsa_named_barrier_count 0
		.amdhsa_reserve_vcc 1
		.amdhsa_float_round_mode_32 0
		.amdhsa_float_round_mode_16_64 0
		.amdhsa_float_denorm_mode_32 3
		.amdhsa_float_denorm_mode_16_64 3
		.amdhsa_fp16_overflow 0
		.amdhsa_memory_ordered 1
		.amdhsa_forward_progress 1
		.amdhsa_inst_pref_size 19
		.amdhsa_round_robin_scheduling 0
		.amdhsa_exception_fp_ieee_invalid_op 0
		.amdhsa_exception_fp_denorm_src 0
		.amdhsa_exception_fp_ieee_div_zero 0
		.amdhsa_exception_fp_ieee_overflow 0
		.amdhsa_exception_fp_ieee_underflow 0
		.amdhsa_exception_fp_ieee_inexact 0
		.amdhsa_exception_int_div_zero 0
	.end_amdhsa_kernel
	.section	.text._ZN2at6native12_GLOBAL__N_137upsample_bicubic2d_out_frame_parallelIN3c108BFloat16EfEEviT0_S5_bN5torch10headeronly6detail27GenericPackedTensorAccessorINS8_14TensorAccessorINS3_8ArrayRefIlEEKT_Lm3ENS7_16DefaultPtrTraitsElEENS_6detail16IndexBoundsCheckILm4ElEESE_Lm4ESF_lEENS9_INSA_ISC_SD_Lm3ESF_lEESJ_SD_Lm4ESF_lEE,"axG",@progbits,_ZN2at6native12_GLOBAL__N_137upsample_bicubic2d_out_frame_parallelIN3c108BFloat16EfEEviT0_S5_bN5torch10headeronly6detail27GenericPackedTensorAccessorINS8_14TensorAccessorINS3_8ArrayRefIlEEKT_Lm3ENS7_16DefaultPtrTraitsElEENS_6detail16IndexBoundsCheckILm4ElEESE_Lm4ESF_lEENS9_INSA_ISC_SD_Lm3ESF_lEESJ_SD_Lm4ESF_lEE,comdat
.Lfunc_end6:
	.size	_ZN2at6native12_GLOBAL__N_137upsample_bicubic2d_out_frame_parallelIN3c108BFloat16EfEEviT0_S5_bN5torch10headeronly6detail27GenericPackedTensorAccessorINS8_14TensorAccessorINS3_8ArrayRefIlEEKT_Lm3ENS7_16DefaultPtrTraitsElEENS_6detail16IndexBoundsCheckILm4ElEESE_Lm4ESF_lEENS9_INSA_ISC_SD_Lm3ESF_lEESJ_SD_Lm4ESF_lEE, .Lfunc_end6-_ZN2at6native12_GLOBAL__N_137upsample_bicubic2d_out_frame_parallelIN3c108BFloat16EfEEviT0_S5_bN5torch10headeronly6detail27GenericPackedTensorAccessorINS8_14TensorAccessorINS3_8ArrayRefIlEEKT_Lm3ENS7_16DefaultPtrTraitsElEENS_6detail16IndexBoundsCheckILm4ElEESE_Lm4ESF_lEENS9_INSA_ISC_SD_Lm3ESF_lEESJ_SD_Lm4ESF_lEE
                                        ; -- End function
	.set _ZN2at6native12_GLOBAL__N_137upsample_bicubic2d_out_frame_parallelIN3c108BFloat16EfEEviT0_S5_bN5torch10headeronly6detail27GenericPackedTensorAccessorINS8_14TensorAccessorINS3_8ArrayRefIlEEKT_Lm3ENS7_16DefaultPtrTraitsElEENS_6detail16IndexBoundsCheckILm4ElEESE_Lm4ESF_lEENS9_INSA_ISC_SD_Lm3ESF_lEESJ_SD_Lm4ESF_lEE.num_vgpr, 67
	.set _ZN2at6native12_GLOBAL__N_137upsample_bicubic2d_out_frame_parallelIN3c108BFloat16EfEEviT0_S5_bN5torch10headeronly6detail27GenericPackedTensorAccessorINS8_14TensorAccessorINS3_8ArrayRefIlEEKT_Lm3ENS7_16DefaultPtrTraitsElEENS_6detail16IndexBoundsCheckILm4ElEESE_Lm4ESF_lEENS9_INSA_ISC_SD_Lm3ESF_lEESJ_SD_Lm4ESF_lEE.num_agpr, 0
	.set _ZN2at6native12_GLOBAL__N_137upsample_bicubic2d_out_frame_parallelIN3c108BFloat16EfEEviT0_S5_bN5torch10headeronly6detail27GenericPackedTensorAccessorINS8_14TensorAccessorINS3_8ArrayRefIlEEKT_Lm3ENS7_16DefaultPtrTraitsElEENS_6detail16IndexBoundsCheckILm4ElEESE_Lm4ESF_lEENS9_INSA_ISC_SD_Lm3ESF_lEESJ_SD_Lm4ESF_lEE.numbered_sgpr, 38
	.set _ZN2at6native12_GLOBAL__N_137upsample_bicubic2d_out_frame_parallelIN3c108BFloat16EfEEviT0_S5_bN5torch10headeronly6detail27GenericPackedTensorAccessorINS8_14TensorAccessorINS3_8ArrayRefIlEEKT_Lm3ENS7_16DefaultPtrTraitsElEENS_6detail16IndexBoundsCheckILm4ElEESE_Lm4ESF_lEENS9_INSA_ISC_SD_Lm3ESF_lEESJ_SD_Lm4ESF_lEE.num_named_barrier, 0
	.set _ZN2at6native12_GLOBAL__N_137upsample_bicubic2d_out_frame_parallelIN3c108BFloat16EfEEviT0_S5_bN5torch10headeronly6detail27GenericPackedTensorAccessorINS8_14TensorAccessorINS3_8ArrayRefIlEEKT_Lm3ENS7_16DefaultPtrTraitsElEENS_6detail16IndexBoundsCheckILm4ElEESE_Lm4ESF_lEENS9_INSA_ISC_SD_Lm3ESF_lEESJ_SD_Lm4ESF_lEE.private_seg_size, 0
	.set _ZN2at6native12_GLOBAL__N_137upsample_bicubic2d_out_frame_parallelIN3c108BFloat16EfEEviT0_S5_bN5torch10headeronly6detail27GenericPackedTensorAccessorINS8_14TensorAccessorINS3_8ArrayRefIlEEKT_Lm3ENS7_16DefaultPtrTraitsElEENS_6detail16IndexBoundsCheckILm4ElEESE_Lm4ESF_lEENS9_INSA_ISC_SD_Lm3ESF_lEESJ_SD_Lm4ESF_lEE.uses_vcc, 1
	.set _ZN2at6native12_GLOBAL__N_137upsample_bicubic2d_out_frame_parallelIN3c108BFloat16EfEEviT0_S5_bN5torch10headeronly6detail27GenericPackedTensorAccessorINS8_14TensorAccessorINS3_8ArrayRefIlEEKT_Lm3ENS7_16DefaultPtrTraitsElEENS_6detail16IndexBoundsCheckILm4ElEESE_Lm4ESF_lEENS9_INSA_ISC_SD_Lm3ESF_lEESJ_SD_Lm4ESF_lEE.uses_flat_scratch, 0
	.set _ZN2at6native12_GLOBAL__N_137upsample_bicubic2d_out_frame_parallelIN3c108BFloat16EfEEviT0_S5_bN5torch10headeronly6detail27GenericPackedTensorAccessorINS8_14TensorAccessorINS3_8ArrayRefIlEEKT_Lm3ENS7_16DefaultPtrTraitsElEENS_6detail16IndexBoundsCheckILm4ElEESE_Lm4ESF_lEENS9_INSA_ISC_SD_Lm3ESF_lEESJ_SD_Lm4ESF_lEE.has_dyn_sized_stack, 0
	.set _ZN2at6native12_GLOBAL__N_137upsample_bicubic2d_out_frame_parallelIN3c108BFloat16EfEEviT0_S5_bN5torch10headeronly6detail27GenericPackedTensorAccessorINS8_14TensorAccessorINS3_8ArrayRefIlEEKT_Lm3ENS7_16DefaultPtrTraitsElEENS_6detail16IndexBoundsCheckILm4ElEESE_Lm4ESF_lEENS9_INSA_ISC_SD_Lm3ESF_lEESJ_SD_Lm4ESF_lEE.has_recursion, 0
	.set _ZN2at6native12_GLOBAL__N_137upsample_bicubic2d_out_frame_parallelIN3c108BFloat16EfEEviT0_S5_bN5torch10headeronly6detail27GenericPackedTensorAccessorINS8_14TensorAccessorINS3_8ArrayRefIlEEKT_Lm3ENS7_16DefaultPtrTraitsElEENS_6detail16IndexBoundsCheckILm4ElEESE_Lm4ESF_lEENS9_INSA_ISC_SD_Lm3ESF_lEESJ_SD_Lm4ESF_lEE.has_indirect_call, 0
	.section	.AMDGPU.csdata,"",@progbits
; Kernel info:
; codeLenInByte = 2308
; TotalNumSgprs: 40
; NumVgprs: 67
; ScratchSize: 0
; MemoryBound: 0
; FloatMode: 240
; IeeeMode: 1
; LDSByteSize: 0 bytes/workgroup (compile time only)
; SGPRBlocks: 0
; VGPRBlocks: 4
; NumSGPRsForWavesPerEU: 40
; NumVGPRsForWavesPerEU: 67
; NamedBarCnt: 0
; Occupancy: 12
; WaveLimiterHint : 1
; COMPUTE_PGM_RSRC2:SCRATCH_EN: 0
; COMPUTE_PGM_RSRC2:USER_SGPR: 2
; COMPUTE_PGM_RSRC2:TRAP_HANDLER: 0
; COMPUTE_PGM_RSRC2:TGID_X_EN: 1
; COMPUTE_PGM_RSRC2:TGID_Y_EN: 0
; COMPUTE_PGM_RSRC2:TGID_Z_EN: 1
; COMPUTE_PGM_RSRC2:TIDIG_COMP_CNT: 0
	.section	.text._ZN2at6native12_GLOBAL__N_128upsample_bicubic2d_out_frameIN3c108BFloat16EfEEviT0_S5_bN5torch10headeronly6detail27GenericPackedTensorAccessorINS8_14TensorAccessorINS3_8ArrayRefIlEEKT_Lm3ENS7_16DefaultPtrTraitsElEENS_6detail16IndexBoundsCheckILm4ElEESE_Lm4ESF_lEENS9_INSA_ISC_SD_Lm3ESF_lEESJ_SD_Lm4ESF_lEE,"axG",@progbits,_ZN2at6native12_GLOBAL__N_128upsample_bicubic2d_out_frameIN3c108BFloat16EfEEviT0_S5_bN5torch10headeronly6detail27GenericPackedTensorAccessorINS8_14TensorAccessorINS3_8ArrayRefIlEEKT_Lm3ENS7_16DefaultPtrTraitsElEENS_6detail16IndexBoundsCheckILm4ElEESE_Lm4ESF_lEENS9_INSA_ISC_SD_Lm3ESF_lEESJ_SD_Lm4ESF_lEE,comdat
	.globl	_ZN2at6native12_GLOBAL__N_128upsample_bicubic2d_out_frameIN3c108BFloat16EfEEviT0_S5_bN5torch10headeronly6detail27GenericPackedTensorAccessorINS8_14TensorAccessorINS3_8ArrayRefIlEEKT_Lm3ENS7_16DefaultPtrTraitsElEENS_6detail16IndexBoundsCheckILm4ElEESE_Lm4ESF_lEENS9_INSA_ISC_SD_Lm3ESF_lEESJ_SD_Lm4ESF_lEE ; -- Begin function _ZN2at6native12_GLOBAL__N_128upsample_bicubic2d_out_frameIN3c108BFloat16EfEEviT0_S5_bN5torch10headeronly6detail27GenericPackedTensorAccessorINS8_14TensorAccessorINS3_8ArrayRefIlEEKT_Lm3ENS7_16DefaultPtrTraitsElEENS_6detail16IndexBoundsCheckILm4ElEESE_Lm4ESF_lEENS9_INSA_ISC_SD_Lm3ESF_lEESJ_SD_Lm4ESF_lEE
	.p2align	8
	.type	_ZN2at6native12_GLOBAL__N_128upsample_bicubic2d_out_frameIN3c108BFloat16EfEEviT0_S5_bN5torch10headeronly6detail27GenericPackedTensorAccessorINS8_14TensorAccessorINS3_8ArrayRefIlEEKT_Lm3ENS7_16DefaultPtrTraitsElEENS_6detail16IndexBoundsCheckILm4ElEESE_Lm4ESF_lEENS9_INSA_ISC_SD_Lm3ESF_lEESJ_SD_Lm4ESF_lEE,@function
_ZN2at6native12_GLOBAL__N_128upsample_bicubic2d_out_frameIN3c108BFloat16EfEEviT0_S5_bN5torch10headeronly6detail27GenericPackedTensorAccessorINS8_14TensorAccessorINS3_8ArrayRefIlEEKT_Lm3ENS7_16DefaultPtrTraitsElEENS_6detail16IndexBoundsCheckILm4ElEESE_Lm4ESF_lEENS9_INSA_ISC_SD_Lm3ESF_lEESJ_SD_Lm4ESF_lEE: ; @_ZN2at6native12_GLOBAL__N_128upsample_bicubic2d_out_frameIN3c108BFloat16EfEEviT0_S5_bN5torch10headeronly6detail27GenericPackedTensorAccessorINS8_14TensorAccessorINS3_8ArrayRefIlEEKT_Lm3ENS7_16DefaultPtrTraitsElEENS_6detail16IndexBoundsCheckILm4ElEESE_Lm4ESF_lEENS9_INSA_ISC_SD_Lm3ESF_lEESJ_SD_Lm4ESF_lEE
; %bb.0:
	s_clause 0x1
	s_load_b32 s2, s[0:1], 0xac
	s_load_b128 s[12:15], s[0:1], 0x0
	s_bfe_u32 s3, ttmp6, 0x4000c
	s_and_b32 s4, ttmp6, 15
	s_add_co_i32 s3, s3, 1
	s_getreg_b32 s5, hwreg(HW_REG_IB_STS2, 6, 4)
	s_mul_i32 s3, ttmp9, s3
	s_delay_alu instid0(SALU_CYCLE_1) | instskip(SKIP_4) | instid1(SALU_CYCLE_1)
	s_add_co_i32 s4, s4, s3
	s_wait_kmcnt 0x0
	s_and_b32 s2, s2, 0xffff
	s_cmp_eq_u32 s5, 0
	s_cselect_b32 s3, ttmp9, s4
	v_mad_u32 v1, s3, s2, v0
	s_mov_b32 s2, exec_lo
	s_delay_alu instid0(VALU_DEP_1)
	v_cmpx_gt_i32_e64 s12, v1
	s_cbranch_execz .LBB7_14
; %bb.1:
	s_load_b128 s[16:19], s[0:1], 0x70
	s_wait_kmcnt 0x0
	s_abs_i32 s2, s18
	s_delay_alu instid0(SALU_CYCLE_1) | instskip(SKIP_1) | instid1(SALU_CYCLE_2)
	s_cvt_f32_u32 s3, s2
	s_sub_co_i32 s4, 0, s2
	v_rcp_iflag_f32_e32 v0, s3
	v_nop
	s_delay_alu instid0(TRANS32_DEP_1) | instskip(SKIP_2) | instid1(VALU_DEP_1)
	v_readfirstlane_b32 s3, v0
	v_sub_nc_u32_e32 v0, 0, v1
	s_mul_f32 s3, s3, 0x4f7ffffe
	v_max_i32_e32 v0, v1, v0
	s_delay_alu instid0(SALU_CYCLE_2) | instskip(NEXT) | instid1(SALU_CYCLE_3)
	s_cvt_u32_f32 s3, s3
	s_mul_i32 s4, s4, s3
	s_delay_alu instid0(SALU_CYCLE_1) | instskip(NEXT) | instid1(SALU_CYCLE_1)
	s_mul_hi_u32 s4, s3, s4
	s_add_co_i32 s3, s3, s4
	s_load_b256 s[4:11], s[0:1], 0x18
	v_mul_hi_u32 v2, v0, s3
	s_delay_alu instid0(VALU_DEP_1) | instskip(SKIP_2) | instid1(VALU_DEP_1)
	v_mul_lo_u32 v3, v2, s2
	s_wait_kmcnt 0x0
	s_cmp_lg_u32 s8, s16
	v_dual_sub_nc_u32 v0, v0, v3 :: v_dual_add_nc_u32 v3, 1, v2
	s_delay_alu instid0(VALU_DEP_1) | instskip(NEXT) | instid1(VALU_DEP_2)
	v_cmp_le_u32_e32 vcc_lo, s2, v0
	v_dual_cndmask_b32 v2, v2, v3, vcc_lo :: v_dual_bitop2_b32 v3, s18, v1 bitop3:0x14
	v_subrev_nc_u32_e32 v4, s2, v0
	s_delay_alu instid0(VALU_DEP_1) | instskip(NEXT) | instid1(VALU_DEP_1)
	v_dual_cndmask_b32 v0, v0, v4, vcc_lo :: v_dual_add_nc_u32 v4, 1, v2
	v_cmp_le_u32_e32 vcc_lo, s2, v0
	s_delay_alu instid0(VALU_DEP_4) | instskip(SKIP_4) | instid1(SALU_CYCLE_1)
	v_ashrrev_i32_e32 v3, 31, v3
	s_cselect_b32 s2, -1, 0
	s_cmp_lg_u32 s10, s18
	v_cndmask_b32_e32 v0, v2, v4, vcc_lo
	s_cselect_b32 s3, -1, 0
	s_or_b32 s2, s3, s2
	s_cmp_gt_i32 s4, 0
	s_delay_alu instid0(VALU_DEP_1) | instskip(SKIP_3) | instid1(VALU_DEP_1)
	v_xor_b32_e32 v0, v0, v3
	s_cselect_b32 s5, -1, 0
	s_and_b32 vcc_lo, exec_lo, s2
	s_mov_b32 s2, -1
	v_sub_nc_u32_e32 v0, v0, v3
	s_delay_alu instid0(VALU_DEP_1) | instskip(NEXT) | instid1(VALU_DEP_1)
	v_mul_lo_u32 v2, v0, s18
	v_sub_nc_u32_e32 v2, v1, v2
	s_cbranch_vccz .LBB7_8
; %bb.2:
	s_and_not1_b32 vcc_lo, exec_lo, s5
	s_cbranch_vccnz .LBB7_7
; %bb.3:
	v_cvt_f32_i32_e32 v1, v0
	v_cvt_f32_i32_e32 v3, v2
	s_bitcmp1_b32 s15, 0
	s_load_b256 s[20:27], s[0:1], 0x80
	s_cselect_b32 vcc_lo, -1, 0
	s_delay_alu instid0(VALU_DEP_1) | instskip(SKIP_2) | instid1(VALU_DEP_2)
	v_dual_add_f32 v4, 0.5, v1 :: v_dual_add_f32 v5, 0.5, v3
	v_dual_mul_f32 v1, s13, v1 :: v_dual_mul_f32 v3, s14, v3
	s_cmp_gt_i32 s6, 0
	v_fma_f32 v4, s13, v4, -0.5
	s_delay_alu instid0(VALU_DEP_3) | instskip(SKIP_3) | instid1(VALU_DEP_1)
	v_fma_f32 v5, s14, v5, -0.5
	s_mov_b32 s9, 0xbf400000
	s_mov_b32 s11, 0x3fa00000
	s_cselect_b32 s30, -1, 0
	v_dual_cndmask_b32 v1, v4, v1, vcc_lo :: v_dual_cndmask_b32 v3, v5, v3, vcc_lo
	s_add_co_i32 s10, s10, -1
	s_clause 0x1
	s_load_b256 s[12:19], s[0:1], 0x38
	s_load_b64 s[28:29], s[0:1], 0x58
	s_add_co_i32 s8, s8, -1
	v_floor_f32_e32 v6, v1
	v_floor_f32_e32 v4, v3
	v_mov_b64_e32 v[44:45], 0x404000003f800000
	s_load_b64 s[2:3], s[0:1], 0x10
	s_mov_b32 s7, 0
	v_cvt_i32_f32_e32 v15, v6
	v_cvt_i32_f32_e32 v4, v4
	s_delay_alu instid0(VALU_DEP_2) | instskip(NEXT) | instid1(VALU_DEP_2)
	v_dual_mov_b32 v5, 0 :: v_dual_add_nc_u32 v18, -1, v15
	v_cvt_f32_i32_e32 v6, v4
	v_cvt_f32_i32_e32 v8, v15
	s_delay_alu instid0(VALU_DEP_3) | instskip(SKIP_1) | instid1(VALU_DEP_4)
	v_dual_mov_b32 v11, v5 :: v_dual_add_nc_u32 v10, -1, v4
	v_dual_mov_b32 v7, v5 :: v_dual_mov_b32 v9, v5
	v_dual_sub_f32 v13, v3, v6 :: v_dual_add_nc_u32 v3, 1, v4
	v_add_nc_u32_e32 v12, 2, v4
	v_sub_f32_e32 v14, v1, v8
	v_minmax_i32 v6, v4, s10, 0
	s_delay_alu instid0(VALU_DEP_4) | instskip(SKIP_3) | instid1(VALU_DEP_4)
	v_dual_add_f32 v16, 1.0, v13 :: v_dual_fmaak_f32 v1, s11, v13, 0xc0100000
	v_minmax_i32 v8, v3, s10, 0
	v_minmax_i32 v4, v10, s10, 0
	;; [unrolled: 1-line block ×3, first 2 shown]
	v_fmaak_f32 v3, s9, v16, 0x40700000
	v_sub_f32_e32 v39, 1.0, v13
	v_dual_mul_f32 v17, v13, v1 :: v_dual_ashrrev_i32 v1, 31, v0
	v_sub_f32_e32 v38, 1.0, v14
	s_delay_alu instid0(VALU_DEP_4) | instskip(NEXT) | instid1(VALU_DEP_4)
	v_fmaak_f32 v12, v16, v3, 0xc0c00000
	v_fmaak_f32 v19, s11, v39, 0xc0100000
	v_ashrrev_i32_e32 v3, 31, v2
	s_wait_kmcnt 0x0
	v_mul_u64_e32 v[20:21], s[24:25], v[0:1]
	v_dual_add_nc_u32 v1, 1, v15 :: v_dual_mov_b32 v29, v5
	v_dual_mul_f32 v40, v39, v19 :: v_dual_add_f32 v19, 1.0, v14
	v_minmax_i32 v24, v18, s8, 0
	s_delay_alu instid0(VALU_DEP_3) | instskip(SKIP_4) | instid1(VALU_DEP_4)
	v_minmax_i32 v28, v1, s8, 0
	v_dual_add_nc_u32 v1, 2, v15 :: v_dual_mov_b32 v25, v5
	v_mov_b32_e32 v27, v5
	v_minmax_i32 v26, v15, s8, 0
	v_mul_u64_e32 v[32:33], s[18:19], v[6:7]
	v_minmax_i32 v6, v1, s8, 0
	v_mul_u64_e32 v[24:25], s[16:17], v[24:25]
	v_mul_u64_e32 v[30:31], s[18:19], v[4:5]
	v_mul_u64_e32 v[34:35], s[18:19], v[8:9]
	v_mul_u64_e32 v[36:37], s[18:19], v[10:11]
	v_mul_u64_e32 v[26:27], s[16:17], v[26:27]
	v_mul_u64_e32 v[28:29], s[16:17], v[28:29]
	v_mul_u64_e32 v[42:43], s[16:17], v[6:7]
	v_add_f32_e32 v46, 1.0, v39
	v_mul_u64_e32 v[22:23], s[26:27], v[2:3]
	v_fmaak_f32 v3, s9, v19, 0x40700000
	v_mov_b64_e32 v[10:11], 0x3f80000040400000
	v_fmaak_f32 v5, s11, v38, 0xc0100000
	v_fma_f32 v4, v39, v40, 1.0
	s_lshl_b64 s[12:13], s[12:13], 1
	v_fmaak_f32 v15, v19, v3, 0xc0c00000
	v_fmaak_f32 v3, s11, v14, 0xc0100000
	;; [unrolled: 1-line block ×3, first 2 shown]
	v_pk_fma_f32 v[10:11], v[12:13], v[16:17], v[10:11]
	v_mul_f32_e32 v40, v38, v5
	v_lshl_add_u64 v[20:21], v[20:21], 1, s[28:29]
	v_mul_f32_e32 v18, v14, v3
	s_delay_alu instid0(VALU_DEP_4) | instskip(SKIP_1) | instid1(VALU_DEP_3)
	v_dual_fmaak_f32 v1, v46, v41, 0xc0c00000 :: v_dual_mov_b32 v16, v11
	v_dual_add_f32 v41, 1.0, v38 :: v_dual_mov_b32 v5, v4
	v_pk_fma_f32 v[8:9], v[14:15], v[18:19], v[44:45]
	v_mov_b32_e32 v17, v10
	s_lshl_b64 s[10:11], s[22:23], 1
	s_delay_alu instid0(VALU_DEP_3) | instskip(SKIP_3) | instid1(VALU_DEP_2)
	v_fmaak_f32 v6, s9, v41, 0x40700000
	s_lshl_b64 s[8:9], s[20:21], 1
	s_lshl_b64 s[14:15], s[14:15], 1
	v_lshlrev_b64_e32 v[24:25], 1, v[24:25]
	v_fmaak_f32 v39, v41, v6, 0xc0c00000
	v_fmaak_f32 v6, v46, v1, 0x40400000
	v_lshlrev_b64_e32 v[46:47], 1, v[32:33]
	v_lshlrev_b64_e32 v[48:49], 1, v[34:35]
	;; [unrolled: 1-line block ×3, first 2 shown]
	v_pk_fma_f32 v[12:13], v[40:41], v[38:39], v[44:45]
	v_lshlrev_b64_e32 v[44:45], 1, v[30:31]
	v_lshlrev_b64_e32 v[32:33], 1, v[26:27]
	;; [unrolled: 1-line block ×4, first 2 shown]
	v_lshl_add_u64 v[14:15], v[22:23], 1, v[20:21]
	v_add_nc_u64_e32 v[20:21], v[46:47], v[24:25]
	v_add_nc_u64_e32 v[22:23], v[24:25], v[48:49]
	;; [unrolled: 1-line block ×16, first 2 shown]
	v_mov_b32_e32 v7, v6
	s_branch .LBB7_5
.LBB7_4:                                ;   in Loop: Header=BB7_5 Depth=1
	v_add_nc_u64_e32 v[14:15], s[8:9], v[14:15]
	s_add_co_i32 s7, s7, 1
	s_add_nc_u64 s[2:3], s[2:3], s[12:13]
	s_cmp_lg_u32 s7, s4
	s_cbranch_scc0 .LBB7_7
.LBB7_5:                                ; =>This Loop Header: Depth=1
                                        ;     Child Loop BB7_6 Depth 2
	s_delay_alu instid0(VALU_DEP_1)
	v_mov_b64_e32 v[50:51], v[14:15]
	s_and_not1_b32 vcc_lo, exec_lo, s30
	s_mov_b64 s[16:17], s[2:3]
	s_mov_b32 s18, s6
	s_cbranch_vccnz .LBB7_4
.LBB7_6:                                ;   Parent Loop BB7_5 Depth=1
                                        ; =>  This Inner Loop Header: Depth=2
	v_add_nc_u64_e32 v[54:55], s[16:17], v[20:21]
	v_add_nc_u64_e32 v[56:57], s[16:17], v[26:27]
	;; [unrolled: 1-line block ×7, first 2 shown]
	s_clause 0x1
	global_load_u16 v1, v[54:55], off
	global_load_u16 v3, v[56:57], off
	s_wait_xcnt 0x1
	v_add_nc_u64_e32 v[54:55], s[16:17], v[24:25]
	s_clause 0x3
	global_load_u16 v66, v[58:59], off
	global_load_u16 v60, v[60:61], off
	;; [unrolled: 1-line block ×4, first 2 shown]
	v_add_nc_u64_e32 v[56:57], s[16:17], v[36:37]
	s_clause 0x1
	global_load_u16 v63, v[54:55], off
	global_load_u16 v64, v[52:53], off
	s_wait_xcnt 0x0
	v_add_nc_u64_e32 v[52:53], s[16:17], v[44:45]
	v_add_nc_u64_e32 v[58:59], s[16:17], v[42:43]
	;; [unrolled: 1-line block ×3, first 2 shown]
	s_clause 0x3
	global_load_u16 v56, v[56:57], off
	global_load_u16 v57, v[58:59], off
	;; [unrolled: 1-line block ×4, first 2 shown]
	s_wait_xcnt 0x1
	v_add_nc_u64_e32 v[52:53], s[16:17], v[38:39]
	s_add_co_i32 s18, s18, -1
	s_delay_alu instid0(SALU_CYCLE_1)
	s_cmp_lg_u32 s18, 0
	global_load_u16 v67, v[52:53], off
	s_wait_xcnt 0x0
	v_add_nc_u64_e32 v[52:53], s[16:17], v[48:49]
	global_load_u16 v68, v[52:53], off
	s_wait_loadcnt 0xc
	s_wait_xcnt 0x0
	v_dual_lshlrev_b32 v53, 16, v1 :: v_dual_lshlrev_b32 v52, 16, v3
	s_wait_loadcnt 0xa
	v_dual_lshlrev_b32 v54, 16, v66 :: v_dual_lshlrev_b32 v59, 16, v60
	s_delay_alu instid0(VALU_DEP_2) | instskip(SKIP_4) | instid1(VALU_DEP_1)
	v_pk_mul_f32 v[52:53], v[10:11], v[52:53]
	s_wait_loadcnt 0x7
	v_dual_lshlrev_b32 v62, 16, v62 :: v_dual_lshlrev_b32 v63, 16, v63
	s_wait_loadcnt 0x6
	v_lshlrev_b32_e32 v55, 16, v64
	v_pk_fma_f32 v[52:53], v[16:17], v[54:55], v[52:53]
	v_add_nc_u64_e32 v[54:55], s[16:17], v[40:41]
	global_load_u16 v1, v[54:55], off
	s_wait_xcnt 0x0
	v_add_nc_u64_e32 v[54:55], s[16:17], v[34:35]
	s_add_nc_u64 s[16:17], s[16:17], s[14:15]
	s_wait_loadcnt 0x2
	v_lshlrev_b32_e32 v60, 16, v67
	global_load_u16 v3, v[54:55], off
	s_wait_xcnt 0x0
	v_dual_lshlrev_b32 v55, 16, v57 :: v_dual_lshlrev_b32 v54, 16, v56
	v_dual_lshlrev_b32 v57, 16, v58 :: v_dual_lshlrev_b32 v58, 16, v61
	v_lshlrev_b32_e32 v61, 16, v65
	s_delay_alu instid0(VALU_DEP_3) | instskip(NEXT) | instid1(VALU_DEP_3)
	v_pk_mul_f32 v[54:55], v[16:17], v[54:55]
	v_pk_fma_f32 v[52:53], v[4:5], v[58:59], v[52:53]
	s_delay_alu instid0(VALU_DEP_1) | instskip(NEXT) | instid1(VALU_DEP_1)
	v_pk_fma_f32 v[52:53], v[6:7], v[62:63], v[52:53]
	v_pk_mul_f32 v[52:53], v[8:9], v[52:53]
	s_wait_loadcnt 0x0
	v_lshlrev_b32_e32 v56, 16, v3
	s_delay_alu instid0(VALU_DEP_1) | instskip(SKIP_2) | instid1(VALU_DEP_3)
	v_pk_fma_f32 v[54:55], v[10:11], v[56:57], v[54:55]
	v_dual_lshlrev_b32 v57, 16, v68 :: v_dual_lshlrev_b32 v56, 16, v1
	v_add_f32_e32 v1, v52, v53
	v_pk_fma_f32 v[54:55], v[4:5], v[60:61], v[54:55]
	s_delay_alu instid0(VALU_DEP_1) | instskip(NEXT) | instid1(VALU_DEP_1)
	v_pk_fma_f32 v[54:55], v[6:7], v[56:57], v[54:55]
	v_pk_mul_f32 v[54:55], v[12:13], v[54:55]
	s_delay_alu instid0(VALU_DEP_1) | instskip(NEXT) | instid1(VALU_DEP_1)
	v_add_f32_e32 v1, v54, v1
	v_add_f32_e32 v1, v55, v1
	s_delay_alu instid0(VALU_DEP_1) | instskip(SKIP_1) | instid1(VALU_DEP_2)
	v_bfe_u32 v3, v1, 16, 1
	v_cmp_o_f32_e32 vcc_lo, v1, v1
	v_add3_u32 v3, v1, v3, 0x7fff
	s_delay_alu instid0(VALU_DEP_1) | instskip(NEXT) | instid1(VALU_DEP_1)
	v_lshrrev_b32_e32 v3, 16, v3
	v_cndmask_b32_e32 v1, 0x7fc0, v3, vcc_lo
	global_store_b16 v[50:51], v1, off
	s_wait_xcnt 0x0
	v_add_nc_u64_e32 v[50:51], s[10:11], v[50:51]
	s_cbranch_scc1 .LBB7_6
	s_branch .LBB7_4
.LBB7_7:
	s_mov_b32 s2, 0
.LBB7_8:
	s_delay_alu instid0(SALU_CYCLE_1)
	s_and_not1_b32 vcc_lo, exec_lo, s2
	s_cbranch_vccnz .LBB7_14
; %bb.9:
	s_and_not1_b32 vcc_lo, exec_lo, s5
	s_cbranch_vccnz .LBB7_14
; %bb.10:
	s_clause 0x1
	s_load_b256 s[8:15], s[0:1], 0x38
	s_load_b256 s[16:23], s[0:1], 0x80
	v_dual_ashrrev_i32 v1, 31, v0 :: v_dual_ashrrev_i32 v3, 31, v2
	s_cmp_gt_i32 s6, 0
	s_mov_b32 s5, 0
	s_cselect_b32 s7, -1, 0
	s_wait_kmcnt 0x0
	v_mul_u64_e32 v[4:5], s[12:13], v[0:1]
	v_mul_u64_e32 v[0:1], s[20:21], v[0:1]
	;; [unrolled: 1-line block ×4, first 2 shown]
	s_clause 0x1
	s_load_b64 s[2:3], s[0:1], 0x10
	s_load_b64 s[12:13], s[0:1], 0x58
	s_wait_xcnt 0x0
	s_lshl_b64 s[0:1], s[16:17], 1
	s_lshl_b64 s[8:9], s[8:9], 1
	s_lshl_b64 s[10:11], s[10:11], 1
	s_wait_kmcnt 0x0
	s_delay_alu instid0(VALU_DEP_4) | instskip(NEXT) | instid1(VALU_DEP_4)
	v_lshl_add_u64 v[4:5], v[4:5], 1, s[2:3]
	v_lshl_add_u64 v[8:9], v[0:1], 1, s[12:13]
	s_lshl_b64 s[2:3], s[18:19], 1
	s_delay_alu instid0(VALU_DEP_2) | instskip(NEXT) | instid1(VALU_DEP_2)
	v_lshl_add_u64 v[0:1], v[6:7], 1, v[4:5]
	v_lshl_add_u64 v[2:3], v[2:3], 1, v[8:9]
	s_branch .LBB7_12
.LBB7_11:                               ;   in Loop: Header=BB7_12 Depth=1
	v_add_nc_u64_e32 v[2:3], s[0:1], v[2:3]
	v_add_nc_u64_e32 v[0:1], s[8:9], v[0:1]
	s_add_co_i32 s5, s5, 1
	s_delay_alu instid0(SALU_CYCLE_1)
	s_cmp_eq_u32 s5, s4
	s_cbranch_scc1 .LBB7_14
.LBB7_12:                               ; =>This Loop Header: Depth=1
                                        ;     Child Loop BB7_13 Depth 2
	s_delay_alu instid0(VALU_DEP_1) | instskip(NEXT) | instid1(VALU_DEP_2)
	v_mov_b64_e32 v[4:5], v[0:1]
	v_mov_b64_e32 v[6:7], v[2:3]
	s_and_not1_b32 vcc_lo, exec_lo, s7
	s_mov_b32 s12, s6
	s_cbranch_vccnz .LBB7_11
.LBB7_13:                               ;   Parent Loop BB7_12 Depth=1
                                        ; =>  This Inner Loop Header: Depth=2
	global_load_u16 v8, v[4:5], off
	s_wait_xcnt 0x0
	v_add_nc_u64_e32 v[4:5], s[10:11], v[4:5]
	s_add_co_i32 s12, s12, -1
	s_delay_alu instid0(SALU_CYCLE_1)
	s_cmp_eq_u32 s12, 0
	s_wait_loadcnt 0x0
	global_store_b16 v[6:7], v8, off
	s_wait_xcnt 0x0
	v_add_nc_u64_e32 v[6:7], s[2:3], v[6:7]
	s_cbranch_scc0 .LBB7_13
	s_branch .LBB7_11
.LBB7_14:
	s_sendmsg sendmsg(MSG_DEALLOC_VGPRS)
	s_endpgm
	.section	.rodata,"a",@progbits
	.p2align	6, 0x0
	.amdhsa_kernel _ZN2at6native12_GLOBAL__N_128upsample_bicubic2d_out_frameIN3c108BFloat16EfEEviT0_S5_bN5torch10headeronly6detail27GenericPackedTensorAccessorINS8_14TensorAccessorINS3_8ArrayRefIlEEKT_Lm3ENS7_16DefaultPtrTraitsElEENS_6detail16IndexBoundsCheckILm4ElEESE_Lm4ESF_lEENS9_INSA_ISC_SD_Lm3ESF_lEESJ_SD_Lm4ESF_lEE
		.amdhsa_group_segment_fixed_size 0
		.amdhsa_private_segment_fixed_size 0
		.amdhsa_kernarg_size 416
		.amdhsa_user_sgpr_count 2
		.amdhsa_user_sgpr_dispatch_ptr 0
		.amdhsa_user_sgpr_queue_ptr 0
		.amdhsa_user_sgpr_kernarg_segment_ptr 1
		.amdhsa_user_sgpr_dispatch_id 0
		.amdhsa_user_sgpr_kernarg_preload_length 0
		.amdhsa_user_sgpr_kernarg_preload_offset 0
		.amdhsa_user_sgpr_private_segment_size 0
		.amdhsa_wavefront_size32 1
		.amdhsa_uses_dynamic_stack 0
		.amdhsa_enable_private_segment 0
		.amdhsa_system_sgpr_workgroup_id_x 1
		.amdhsa_system_sgpr_workgroup_id_y 0
		.amdhsa_system_sgpr_workgroup_id_z 0
		.amdhsa_system_sgpr_workgroup_info 0
		.amdhsa_system_vgpr_workitem_id 0
		.amdhsa_next_free_vgpr 69
		.amdhsa_next_free_sgpr 31
		.amdhsa_named_barrier_count 0
		.amdhsa_reserve_vcc 1
		.amdhsa_float_round_mode_32 0
		.amdhsa_float_round_mode_16_64 0
		.amdhsa_float_denorm_mode_32 3
		.amdhsa_float_denorm_mode_16_64 3
		.amdhsa_fp16_overflow 0
		.amdhsa_memory_ordered 1
		.amdhsa_forward_progress 1
		.amdhsa_inst_pref_size 17
		.amdhsa_round_robin_scheduling 0
		.amdhsa_exception_fp_ieee_invalid_op 0
		.amdhsa_exception_fp_denorm_src 0
		.amdhsa_exception_fp_ieee_div_zero 0
		.amdhsa_exception_fp_ieee_overflow 0
		.amdhsa_exception_fp_ieee_underflow 0
		.amdhsa_exception_fp_ieee_inexact 0
		.amdhsa_exception_int_div_zero 0
	.end_amdhsa_kernel
	.section	.text._ZN2at6native12_GLOBAL__N_128upsample_bicubic2d_out_frameIN3c108BFloat16EfEEviT0_S5_bN5torch10headeronly6detail27GenericPackedTensorAccessorINS8_14TensorAccessorINS3_8ArrayRefIlEEKT_Lm3ENS7_16DefaultPtrTraitsElEENS_6detail16IndexBoundsCheckILm4ElEESE_Lm4ESF_lEENS9_INSA_ISC_SD_Lm3ESF_lEESJ_SD_Lm4ESF_lEE,"axG",@progbits,_ZN2at6native12_GLOBAL__N_128upsample_bicubic2d_out_frameIN3c108BFloat16EfEEviT0_S5_bN5torch10headeronly6detail27GenericPackedTensorAccessorINS8_14TensorAccessorINS3_8ArrayRefIlEEKT_Lm3ENS7_16DefaultPtrTraitsElEENS_6detail16IndexBoundsCheckILm4ElEESE_Lm4ESF_lEENS9_INSA_ISC_SD_Lm3ESF_lEESJ_SD_Lm4ESF_lEE,comdat
.Lfunc_end7:
	.size	_ZN2at6native12_GLOBAL__N_128upsample_bicubic2d_out_frameIN3c108BFloat16EfEEviT0_S5_bN5torch10headeronly6detail27GenericPackedTensorAccessorINS8_14TensorAccessorINS3_8ArrayRefIlEEKT_Lm3ENS7_16DefaultPtrTraitsElEENS_6detail16IndexBoundsCheckILm4ElEESE_Lm4ESF_lEENS9_INSA_ISC_SD_Lm3ESF_lEESJ_SD_Lm4ESF_lEE, .Lfunc_end7-_ZN2at6native12_GLOBAL__N_128upsample_bicubic2d_out_frameIN3c108BFloat16EfEEviT0_S5_bN5torch10headeronly6detail27GenericPackedTensorAccessorINS8_14TensorAccessorINS3_8ArrayRefIlEEKT_Lm3ENS7_16DefaultPtrTraitsElEENS_6detail16IndexBoundsCheckILm4ElEESE_Lm4ESF_lEENS9_INSA_ISC_SD_Lm3ESF_lEESJ_SD_Lm4ESF_lEE
                                        ; -- End function
	.set _ZN2at6native12_GLOBAL__N_128upsample_bicubic2d_out_frameIN3c108BFloat16EfEEviT0_S5_bN5torch10headeronly6detail27GenericPackedTensorAccessorINS8_14TensorAccessorINS3_8ArrayRefIlEEKT_Lm3ENS7_16DefaultPtrTraitsElEENS_6detail16IndexBoundsCheckILm4ElEESE_Lm4ESF_lEENS9_INSA_ISC_SD_Lm3ESF_lEESJ_SD_Lm4ESF_lEE.num_vgpr, 69
	.set _ZN2at6native12_GLOBAL__N_128upsample_bicubic2d_out_frameIN3c108BFloat16EfEEviT0_S5_bN5torch10headeronly6detail27GenericPackedTensorAccessorINS8_14TensorAccessorINS3_8ArrayRefIlEEKT_Lm3ENS7_16DefaultPtrTraitsElEENS_6detail16IndexBoundsCheckILm4ElEESE_Lm4ESF_lEENS9_INSA_ISC_SD_Lm3ESF_lEESJ_SD_Lm4ESF_lEE.num_agpr, 0
	.set _ZN2at6native12_GLOBAL__N_128upsample_bicubic2d_out_frameIN3c108BFloat16EfEEviT0_S5_bN5torch10headeronly6detail27GenericPackedTensorAccessorINS8_14TensorAccessorINS3_8ArrayRefIlEEKT_Lm3ENS7_16DefaultPtrTraitsElEENS_6detail16IndexBoundsCheckILm4ElEESE_Lm4ESF_lEENS9_INSA_ISC_SD_Lm3ESF_lEESJ_SD_Lm4ESF_lEE.numbered_sgpr, 31
	.set _ZN2at6native12_GLOBAL__N_128upsample_bicubic2d_out_frameIN3c108BFloat16EfEEviT0_S5_bN5torch10headeronly6detail27GenericPackedTensorAccessorINS8_14TensorAccessorINS3_8ArrayRefIlEEKT_Lm3ENS7_16DefaultPtrTraitsElEENS_6detail16IndexBoundsCheckILm4ElEESE_Lm4ESF_lEENS9_INSA_ISC_SD_Lm3ESF_lEESJ_SD_Lm4ESF_lEE.num_named_barrier, 0
	.set _ZN2at6native12_GLOBAL__N_128upsample_bicubic2d_out_frameIN3c108BFloat16EfEEviT0_S5_bN5torch10headeronly6detail27GenericPackedTensorAccessorINS8_14TensorAccessorINS3_8ArrayRefIlEEKT_Lm3ENS7_16DefaultPtrTraitsElEENS_6detail16IndexBoundsCheckILm4ElEESE_Lm4ESF_lEENS9_INSA_ISC_SD_Lm3ESF_lEESJ_SD_Lm4ESF_lEE.private_seg_size, 0
	.set _ZN2at6native12_GLOBAL__N_128upsample_bicubic2d_out_frameIN3c108BFloat16EfEEviT0_S5_bN5torch10headeronly6detail27GenericPackedTensorAccessorINS8_14TensorAccessorINS3_8ArrayRefIlEEKT_Lm3ENS7_16DefaultPtrTraitsElEENS_6detail16IndexBoundsCheckILm4ElEESE_Lm4ESF_lEENS9_INSA_ISC_SD_Lm3ESF_lEESJ_SD_Lm4ESF_lEE.uses_vcc, 1
	.set _ZN2at6native12_GLOBAL__N_128upsample_bicubic2d_out_frameIN3c108BFloat16EfEEviT0_S5_bN5torch10headeronly6detail27GenericPackedTensorAccessorINS8_14TensorAccessorINS3_8ArrayRefIlEEKT_Lm3ENS7_16DefaultPtrTraitsElEENS_6detail16IndexBoundsCheckILm4ElEESE_Lm4ESF_lEENS9_INSA_ISC_SD_Lm3ESF_lEESJ_SD_Lm4ESF_lEE.uses_flat_scratch, 0
	.set _ZN2at6native12_GLOBAL__N_128upsample_bicubic2d_out_frameIN3c108BFloat16EfEEviT0_S5_bN5torch10headeronly6detail27GenericPackedTensorAccessorINS8_14TensorAccessorINS3_8ArrayRefIlEEKT_Lm3ENS7_16DefaultPtrTraitsElEENS_6detail16IndexBoundsCheckILm4ElEESE_Lm4ESF_lEENS9_INSA_ISC_SD_Lm3ESF_lEESJ_SD_Lm4ESF_lEE.has_dyn_sized_stack, 0
	.set _ZN2at6native12_GLOBAL__N_128upsample_bicubic2d_out_frameIN3c108BFloat16EfEEviT0_S5_bN5torch10headeronly6detail27GenericPackedTensorAccessorINS8_14TensorAccessorINS3_8ArrayRefIlEEKT_Lm3ENS7_16DefaultPtrTraitsElEENS_6detail16IndexBoundsCheckILm4ElEESE_Lm4ESF_lEENS9_INSA_ISC_SD_Lm3ESF_lEESJ_SD_Lm4ESF_lEE.has_recursion, 0
	.set _ZN2at6native12_GLOBAL__N_128upsample_bicubic2d_out_frameIN3c108BFloat16EfEEviT0_S5_bN5torch10headeronly6detail27GenericPackedTensorAccessorINS8_14TensorAccessorINS3_8ArrayRefIlEEKT_Lm3ENS7_16DefaultPtrTraitsElEENS_6detail16IndexBoundsCheckILm4ElEESE_Lm4ESF_lEENS9_INSA_ISC_SD_Lm3ESF_lEESJ_SD_Lm4ESF_lEE.has_indirect_call, 0
	.section	.AMDGPU.csdata,"",@progbits
; Kernel info:
; codeLenInByte = 2060
; TotalNumSgprs: 33
; NumVgprs: 69
; ScratchSize: 0
; MemoryBound: 0
; FloatMode: 240
; IeeeMode: 1
; LDSByteSize: 0 bytes/workgroup (compile time only)
; SGPRBlocks: 0
; VGPRBlocks: 4
; NumSGPRsForWavesPerEU: 33
; NumVGPRsForWavesPerEU: 69
; NamedBarCnt: 0
; Occupancy: 12
; WaveLimiterHint : 1
; COMPUTE_PGM_RSRC2:SCRATCH_EN: 0
; COMPUTE_PGM_RSRC2:USER_SGPR: 2
; COMPUTE_PGM_RSRC2:TRAP_HANDLER: 0
; COMPUTE_PGM_RSRC2:TGID_X_EN: 1
; COMPUTE_PGM_RSRC2:TGID_Y_EN: 0
; COMPUTE_PGM_RSRC2:TGID_Z_EN: 0
; COMPUTE_PGM_RSRC2:TIDIG_COMP_CNT: 0
	.section	.text._ZN2at6native12_GLOBAL__N_137upsample_bicubic2d_backward_out_frameIddEEviT0_S3_bN5torch10headeronly6detail27GenericPackedTensorAccessorINS6_14TensorAccessorIN3c108ArrayRefIlEET_Lm3ENS5_16DefaultPtrTraitsElEENS_6detail16IndexBoundsCheckILm4ElEESC_Lm4ESD_lEENS7_INS8_ISB_KSC_Lm3ESD_lEESH_SJ_Lm4ESD_lEE,"axG",@progbits,_ZN2at6native12_GLOBAL__N_137upsample_bicubic2d_backward_out_frameIddEEviT0_S3_bN5torch10headeronly6detail27GenericPackedTensorAccessorINS6_14TensorAccessorIN3c108ArrayRefIlEET_Lm3ENS5_16DefaultPtrTraitsElEENS_6detail16IndexBoundsCheckILm4ElEESC_Lm4ESD_lEENS7_INS8_ISB_KSC_Lm3ESD_lEESH_SJ_Lm4ESD_lEE,comdat
	.globl	_ZN2at6native12_GLOBAL__N_137upsample_bicubic2d_backward_out_frameIddEEviT0_S3_bN5torch10headeronly6detail27GenericPackedTensorAccessorINS6_14TensorAccessorIN3c108ArrayRefIlEET_Lm3ENS5_16DefaultPtrTraitsElEENS_6detail16IndexBoundsCheckILm4ElEESC_Lm4ESD_lEENS7_INS8_ISB_KSC_Lm3ESD_lEESH_SJ_Lm4ESD_lEE ; -- Begin function _ZN2at6native12_GLOBAL__N_137upsample_bicubic2d_backward_out_frameIddEEviT0_S3_bN5torch10headeronly6detail27GenericPackedTensorAccessorINS6_14TensorAccessorIN3c108ArrayRefIlEET_Lm3ENS5_16DefaultPtrTraitsElEENS_6detail16IndexBoundsCheckILm4ElEESC_Lm4ESD_lEENS7_INS8_ISB_KSC_Lm3ESD_lEESH_SJ_Lm4ESD_lEE
	.p2align	8
	.type	_ZN2at6native12_GLOBAL__N_137upsample_bicubic2d_backward_out_frameIddEEviT0_S3_bN5torch10headeronly6detail27GenericPackedTensorAccessorINS6_14TensorAccessorIN3c108ArrayRefIlEET_Lm3ENS5_16DefaultPtrTraitsElEENS_6detail16IndexBoundsCheckILm4ElEESC_Lm4ESD_lEENS7_INS8_ISB_KSC_Lm3ESD_lEESH_SJ_Lm4ESD_lEE,@function
_ZN2at6native12_GLOBAL__N_137upsample_bicubic2d_backward_out_frameIddEEviT0_S3_bN5torch10headeronly6detail27GenericPackedTensorAccessorINS6_14TensorAccessorIN3c108ArrayRefIlEET_Lm3ENS5_16DefaultPtrTraitsElEENS_6detail16IndexBoundsCheckILm4ElEESC_Lm4ESD_lEENS7_INS8_ISB_KSC_Lm3ESD_lEESH_SJ_Lm4ESD_lEE: ; @_ZN2at6native12_GLOBAL__N_137upsample_bicubic2d_backward_out_frameIddEEviT0_S3_bN5torch10headeronly6detail27GenericPackedTensorAccessorINS6_14TensorAccessorIN3c108ArrayRefIlEET_Lm3ENS5_16DefaultPtrTraitsElEENS_6detail16IndexBoundsCheckILm4ElEESC_Lm4ESD_lEENS7_INS8_ISB_KSC_Lm3ESD_lEESH_SJ_Lm4ESD_lEE
; %bb.0:
	s_clause 0x1
	s_load_b32 s2, s[0:1], 0xbc
	s_load_b32 s3, s[0:1], 0x0
	s_bfe_u32 s4, ttmp6, 0x4000c
	s_and_b32 s5, ttmp6, 15
	s_add_co_i32 s4, s4, 1
	s_getreg_b32 s6, hwreg(HW_REG_IB_STS2, 6, 4)
	s_mul_i32 s4, ttmp9, s4
	s_delay_alu instid0(SALU_CYCLE_1) | instskip(SKIP_4) | instid1(SALU_CYCLE_1)
	s_add_co_i32 s5, s5, s4
	s_wait_kmcnt 0x0
	s_and_b32 s2, s2, 0xffff
	s_cmp_eq_u32 s6, 0
	s_cselect_b32 s4, ttmp9, s5
	v_mad_u32 v1, s4, s2, v0
	s_mov_b32 s2, exec_lo
	s_delay_alu instid0(VALU_DEP_1)
	v_cmpx_gt_i32_e64 s3, v1
	s_cbranch_execz .LBB8_22
; %bb.1:
	s_load_b128 s[12:15], s[0:1], 0x80
	s_wait_kmcnt 0x0
	s_abs_i32 s2, s14
	s_delay_alu instid0(SALU_CYCLE_1) | instskip(SKIP_1) | instid1(SALU_CYCLE_2)
	s_cvt_f32_u32 s3, s2
	s_sub_co_i32 s4, 0, s2
	v_rcp_iflag_f32_e32 v0, s3
	v_nop
	s_delay_alu instid0(TRANS32_DEP_1) | instskip(SKIP_2) | instid1(VALU_DEP_1)
	v_readfirstlane_b32 s3, v0
	v_sub_nc_u32_e32 v0, 0, v1
	s_mul_f32 s3, s3, 0x4f7ffffe
	v_max_i32_e32 v0, v1, v0
	s_delay_alu instid0(SALU_CYCLE_2) | instskip(NEXT) | instid1(SALU_CYCLE_3)
	s_cvt_u32_f32 s3, s3
	s_mul_i32 s4, s4, s3
	s_delay_alu instid0(SALU_CYCLE_1) | instskip(NEXT) | instid1(SALU_CYCLE_1)
	s_mul_hi_u32 s4, s3, s4
	s_add_co_i32 s3, s3, s4
	s_load_b256 s[4:11], s[0:1], 0x28
	v_mul_hi_u32 v2, v0, s3
	s_delay_alu instid0(VALU_DEP_1) | instskip(SKIP_2) | instid1(VALU_DEP_1)
	v_mul_lo_u32 v3, v2, s2
	s_wait_kmcnt 0x0
	s_cmp_lg_u32 s8, s12
	v_dual_sub_nc_u32 v0, v0, v3 :: v_dual_add_nc_u32 v3, 1, v2
	s_delay_alu instid0(VALU_DEP_1) | instskip(NEXT) | instid1(VALU_DEP_2)
	v_cmp_le_u32_e32 vcc_lo, s2, v0
	v_dual_cndmask_b32 v2, v2, v3, vcc_lo :: v_dual_bitop2_b32 v3, s14, v1 bitop3:0x14
	v_subrev_nc_u32_e32 v4, s2, v0
	s_delay_alu instid0(VALU_DEP_1) | instskip(NEXT) | instid1(VALU_DEP_1)
	v_dual_cndmask_b32 v0, v0, v4, vcc_lo :: v_dual_add_nc_u32 v4, 1, v2
	v_cmp_le_u32_e32 vcc_lo, s2, v0
	s_delay_alu instid0(VALU_DEP_4) | instskip(SKIP_4) | instid1(SALU_CYCLE_1)
	v_ashrrev_i32_e32 v3, 31, v3
	s_cselect_b32 s2, -1, 0
	s_cmp_lg_u32 s10, s14
	v_cndmask_b32_e32 v0, v2, v4, vcc_lo
	s_cselect_b32 s3, -1, 0
	s_or_b32 s2, s3, s2
	s_delay_alu instid0(VALU_DEP_1) | instskip(SKIP_2) | instid1(VALU_DEP_1)
	v_xor_b32_e32 v0, v0, v3
	s_and_b32 vcc_lo, exec_lo, s2
	s_mov_b32 s2, -1
	v_sub_nc_u32_e32 v0, v0, v3
	s_delay_alu instid0(VALU_DEP_1) | instskip(NEXT) | instid1(VALU_DEP_1)
	v_mul_lo_u32 v2, v0, s14
	v_sub_nc_u32_e32 v2, v1, v2
	s_cbranch_vccz .LBB8_16
; %bb.2:
	s_delay_alu instid0(VALU_DEP_1)
	v_cvt_f64_i32_e32 v[6:7], v2
	s_clause 0x1
	s_load_b32 s2, s[0:1], 0x18
	s_load_b128 s[12:15], s[0:1], 0x8
	s_mov_b32 s3, -1
                                        ; implicit-def: $vgpr4_vgpr5
	s_wait_kmcnt 0x0
	s_bitcmp1_b32 s2, 0
	s_cselect_b32 s2, -1, 0
	s_delay_alu instid0(SALU_CYCLE_1) | instskip(NEXT) | instid1(SALU_CYCLE_1)
	s_xor_b32 s2, s2, -1
	s_and_b32 vcc_lo, exec_lo, s2
	s_cbranch_vccnz .LBB8_6
; %bb.3:
	s_and_not1_b32 vcc_lo, exec_lo, s3
	s_cbranch_vccz .LBB8_7
.LBB8_4:
	v_cvt_f64_i32_e32 v[8:9], v0
	s_and_b32 vcc_lo, exec_lo, s2
	s_cbranch_vccz .LBB8_8
.LBB8_5:
	s_delay_alu instid0(VALU_DEP_1) | instskip(NEXT) | instid1(VALU_DEP_1)
	v_add_f64_e32 v[6:7], 0.5, v[8:9]
	v_fma_f64 v[6:7], s[12:13], v[6:7], -0.5
	s_cbranch_execz .LBB8_9
	s_branch .LBB8_10
.LBB8_6:
	s_delay_alu instid0(VALU_DEP_1) | instskip(NEXT) | instid1(VALU_DEP_1)
	v_add_f64_e32 v[4:5], 0.5, v[6:7]
	v_fma_f64 v[4:5], s[14:15], v[4:5], -0.5
	s_cbranch_execnz .LBB8_4
.LBB8_7:
	s_delay_alu instid0(VALU_DEP_1)
	v_mul_f64_e32 v[4:5], s[14:15], v[6:7]
	v_cvt_f64_i32_e32 v[8:9], v0
	s_and_b32 vcc_lo, exec_lo, s2
	s_cbranch_vccnz .LBB8_5
.LBB8_8:
                                        ; implicit-def: $vgpr6_vgpr7
.LBB8_9:
	s_delay_alu instid0(VALU_DEP_1)
	v_mul_f64_e32 v[6:7], s[12:13], v[8:9]
.LBB8_10:
	s_cmp_lt_i32 s4, 1
	s_cbranch_scc1 .LBB8_15
; %bb.11:
	s_delay_alu instid0(VALU_DEP_3) | instskip(NEXT) | instid1(VALU_DEP_2)
	v_cvt_f32_f64_e32 v1, v[4:5]
	v_cvt_f32_f64_e32 v3, v[6:7]
	s_mov_b64 s[20:21], 0x3ff4000000000000
	s_load_b256 s[12:19], s[0:1], 0x48
	s_mov_b64 s[2:3], 0xbfe8000000000000
	s_cmp_gt_i32 s6, 0
	s_mov_b32 s7, 0
	s_cselect_b32 s5, -1, 0
	v_mov_b32_e32 v37, 0
	s_delay_alu instid0(VALU_DEP_1) | instskip(SKIP_4) | instid1(VALU_DEP_2)
	v_dual_mov_b32 v47, v37 :: v_dual_mov_b32 v49, v37
	v_dual_mov_b32 v39, v37 :: v_dual_mov_b32 v41, v37
	;; [unrolled: 1-line block ×3, first 2 shown]
	v_floor_f32_e32 v1, v1
	v_floor_f32_e32 v3, v3
	v_cvt_i32_f32_e32 v36, v1
	s_delay_alu instid0(VALU_DEP_2) | instskip(SKIP_1) | instid1(VALU_DEP_3)
	v_cvt_i32_f32_e32 v3, v3
	v_ashrrev_i32_e32 v1, 31, v0
	v_cvt_f64_i32_e32 v[8:9], v36
	s_delay_alu instid0(VALU_DEP_3) | instskip(SKIP_2) | instid1(VALU_DEP_4)
	v_cvt_f64_i32_e32 v[10:11], v3
	v_dual_add_nc_u32 v38, -1, v3 :: v_dual_add_nc_u32 v42, -1, v36
	v_dual_add_nc_u32 v44, 1, v36 :: v_dual_add_nc_u32 v48, 2, v36
	v_dual_add_f64 v[4:5], v[4:5], -v[8:9] :: v_dual_add_nc_u32 v52, 1, v3
	s_delay_alu instid0(VALU_DEP_4) | instskip(NEXT) | instid1(VALU_DEP_2)
	v_add_f64_e64 v[6:7], v[6:7], -v[10:11]
	v_add_f64_e64 v[10:11], -v[4:5], 1.0
	s_delay_alu instid0(VALU_DEP_2) | instskip(SKIP_4) | instid1(VALU_DEP_2)
	v_add_f64_e64 v[14:15], -v[6:7], 1.0
	v_add_f64_e32 v[8:9], 1.0, v[4:5]
	v_add_f64_e32 v[12:13], 1.0, v[6:7]
	v_fmaak_f64 v[20:21], s[20:21], v[4:5], 0xc0020000
	v_fmaak_f64 v[22:23], s[20:21], v[6:7], 0xc0020000
	v_mul_f64_e32 v[20:21], v[4:5], v[20:21]
	s_delay_alu instid0(VALU_DEP_2)
	v_mul_f64_e32 v[22:23], v[6:7], v[22:23]
	v_add_f64_e32 v[16:17], 1.0, v[10:11]
	v_add_f64_e32 v[18:19], 1.0, v[14:15]
	v_fmaak_f64 v[26:27], s[20:21], v[10:11], 0xc0020000
	v_fmaak_f64 v[30:31], s[20:21], v[14:15], 0xc0020000
	s_load_b256 s[20:27], s[0:1], 0x90
	v_fmaak_f64 v[24:25], s[2:3], v[8:9], 0x400e0000
	v_fmaak_f64 v[28:29], s[2:3], v[12:13], 0x400e0000
	s_delay_alu instid0(VALU_DEP_4) | instskip(NEXT) | instid1(VALU_DEP_4)
	v_mul_f64_e32 v[26:27], v[10:11], v[26:27]
	v_mul_f64_e32 v[30:31], v[14:15], v[30:31]
	v_fma_f64 v[6:7], v[6:7], v[22:23], 1.0
	v_fmaak_f64 v[24:25], v[8:9], v[24:25], 0xc0180000
	v_fmaak_f64 v[28:29], v[12:13], v[28:29], 0xc0180000
	s_delay_alu instid0(VALU_DEP_2) | instskip(NEXT) | instid1(VALU_DEP_2)
	v_fmaak_f64 v[8:9], v[8:9], v[24:25], 0x40080000
	v_fmaak_f64 v[12:13], v[12:13], v[28:29], 0x40080000
	;; [unrolled: 1-line block ×4, first 2 shown]
	s_add_co_i32 s2, s8, -1
	s_add_co_i32 s3, s10, -1
	v_minmax_i32 v46, v3, s2, 0
	v_minmax_i32 v40, v36, s3, 0
	v_add_nc_u32_e32 v3, 2, v3
	v_minmax_i32 v36, v38, s2, 0
	v_minmax_i32 v38, v42, s3, 0
	;; [unrolled: 1-line block ×5, first 2 shown]
	s_wait_kmcnt 0x0
	v_mul_u64_e32 v[50:51], s[16:17], v[36:37]
	v_minmax_i32 v36, v3, s2, 0
	v_mul_u64_e32 v[38:39], s[18:19], v[38:39]
	v_mul_u64_e32 v[40:41], s[18:19], v[40:41]
	;; [unrolled: 1-line block ×8, first 2 shown]
	v_ashrrev_i32_e32 v3, 31, v2
	v_fma_f64 v[4:5], v[4:5], v[20:21], 1.0
	v_fma_f64 v[10:11], v[10:11], v[26:27], 1.0
	;; [unrolled: 1-line block ×3, first 2 shown]
	s_clause 0x1
	s_load_b64 s[8:9], s[0:1], 0x68
	s_load_b64 s[2:3], s[0:1], 0x20
	v_mul_u64_e32 v[54:55], s[26:27], v[2:3]
	v_fmaak_f64 v[34:35], v[18:19], v[34:35], 0xc0180000
	v_fmaak_f64 v[32:33], v[16:17], v[32:33], 0xc0180000
	s_lshl_b64 s[10:11], s[14:15], 3
	s_lshl_b64 s[14:15], s[22:23], 3
	s_delay_alu instid0(VALU_DEP_2) | instskip(NEXT) | instid1(VALU_DEP_2)
	v_fmaak_f64 v[18:19], v[18:19], v[34:35], 0x40080000
	v_fmaak_f64 v[16:17], v[16:17], v[32:33], 0x40080000
	v_lshlrev_b64_e32 v[26:27], 3, v[50:51]
	v_lshlrev_b64_e32 v[50:51], 3, v[38:39]
	;; [unrolled: 1-line block ×8, first 2 shown]
	s_wait_kmcnt 0x0
	v_lshl_add_u64 v[52:53], v[52:53], 3, s[8:9]
	v_add_nc_u64_e32 v[20:21], v[26:27], v[50:51]
	v_add_nc_u64_e32 v[22:23], v[56:57], v[26:27]
	;; [unrolled: 1-line block ×16, first 2 shown]
	v_lshl_add_u64 v[52:53], v[54:55], 3, v[52:53]
	s_lshl_b64 s[8:9], s[12:13], 3
	s_lshl_b64 s[12:13], s[20:21], 3
	s_branch .LBB8_13
.LBB8_12:                               ;   in Loop: Header=BB8_13 Depth=1
	v_add_nc_u64_e32 v[52:53], s[12:13], v[52:53]
	s_add_co_i32 s7, s7, 1
	s_add_nc_u64 s[2:3], s[2:3], s[8:9]
	s_cmp_eq_u32 s7, s4
	s_cbranch_scc1 .LBB8_15
.LBB8_13:                               ; =>This Loop Header: Depth=1
                                        ;     Child Loop BB8_14 Depth 2
	s_delay_alu instid0(VALU_DEP_1)
	v_mov_b64_e32 v[54:55], v[52:53]
	s_and_not1_b32 vcc_lo, exec_lo, s5
	s_mov_b64 s[16:17], s[2:3]
	s_mov_b32 s18, s6
	s_cbranch_vccnz .LBB8_12
.LBB8_14:                               ;   Parent Loop BB8_13 Depth=1
                                        ; =>  This Inner Loop Header: Depth=2
	global_load_b64 v[56:57], v[54:55], off
	v_add_nc_u64_e32 v[58:59], s[16:17], v[20:21]
	v_add_nc_u64_e32 v[60:61], s[16:17], v[22:23]
	s_wait_xcnt 0x0
	v_add_nc_u64_e32 v[54:55], s[14:15], v[54:55]
	s_add_co_i32 s18, s18, -1
	s_delay_alu instid0(SALU_CYCLE_1) | instskip(SKIP_2) | instid1(VALU_DEP_1)
	s_cmp_eq_u32 s18, 0
	s_wait_loadcnt 0x0
	v_mul_f64_e32 v[62:63], v[56:57], v[12:13]
	v_mul_f64_e32 v[64:65], v[62:63], v[8:9]
	global_atomic_add_f64 v[58:59], v[64:65], off scope:SCOPE_DEV
	s_wait_xcnt 0x0
	v_mul_f64_e32 v[64:65], v[62:63], v[4:5]
	v_add_nc_u64_e32 v[58:59], s[16:17], v[24:25]
	global_atomic_add_f64 v[60:61], v[64:65], off scope:SCOPE_DEV
	s_wait_xcnt 0x0
	v_mul_f64_e32 v[64:65], v[62:63], v[10:11]
	v_mul_f64_e32 v[62:63], v[62:63], v[16:17]
	v_add_nc_u64_e32 v[60:61], s[16:17], v[26:27]
	global_atomic_add_f64 v[58:59], v[64:65], off scope:SCOPE_DEV
	s_wait_xcnt 0x0
	global_atomic_add_f64 v[60:61], v[62:63], off scope:SCOPE_DEV
	s_wait_xcnt 0x0
	v_mul_f64_e32 v[60:61], v[56:57], v[6:7]
	v_add_nc_u64_e32 v[58:59], s[16:17], v[28:29]
	v_add_nc_u64_e32 v[64:65], s[16:17], v[30:31]
	s_delay_alu instid0(VALU_DEP_3)
	v_mul_f64_e32 v[62:63], v[60:61], v[8:9]
	global_atomic_add_f64 v[58:59], v[62:63], off scope:SCOPE_DEV
	s_wait_xcnt 0x0
	v_mul_f64_e32 v[62:63], v[60:61], v[4:5]
	v_add_nc_u64_e32 v[58:59], s[16:17], v[32:33]
	global_atomic_add_f64 v[64:65], v[62:63], off scope:SCOPE_DEV
	s_wait_xcnt 0x0
	v_mul_f64_e32 v[64:65], v[60:61], v[10:11]
	v_mul_f64_e32 v[60:61], v[60:61], v[16:17]
	v_add_nc_u64_e32 v[62:63], s[16:17], v[34:35]
	global_atomic_add_f64 v[58:59], v[64:65], off scope:SCOPE_DEV
	s_wait_xcnt 0x0
	global_atomic_add_f64 v[62:63], v[60:61], off scope:SCOPE_DEV
	s_wait_xcnt 0x0
	v_mul_f64_e32 v[60:61], v[56:57], v[14:15]
	v_add_nc_u64_e32 v[58:59], s[16:17], v[36:37]
	v_add_nc_u64_e32 v[64:65], s[16:17], v[38:39]
	v_mul_f64_e32 v[56:57], v[56:57], v[18:19]
	s_delay_alu instid0(VALU_DEP_4)
	v_mul_f64_e32 v[62:63], v[60:61], v[8:9]
	global_atomic_add_f64 v[58:59], v[62:63], off scope:SCOPE_DEV
	s_wait_xcnt 0x0
	v_mul_f64_e32 v[62:63], v[60:61], v[4:5]
	v_add_nc_u64_e32 v[58:59], s[16:17], v[40:41]
	global_atomic_add_f64 v[64:65], v[62:63], off scope:SCOPE_DEV
	s_wait_xcnt 0x0
	v_mul_f64_e32 v[64:65], v[60:61], v[10:11]
	v_mul_f64_e32 v[60:61], v[60:61], v[16:17]
	v_add_nc_u64_e32 v[62:63], s[16:17], v[42:43]
	global_atomic_add_f64 v[58:59], v[64:65], off scope:SCOPE_DEV
	s_wait_xcnt 0x0
	v_mul_f64_e32 v[58:59], v[56:57], v[8:9]
	v_mul_f64_e32 v[64:65], v[56:57], v[4:5]
	global_atomic_add_f64 v[62:63], v[60:61], off scope:SCOPE_DEV
	s_wait_xcnt 0x0
	v_mul_f64_e32 v[60:61], v[56:57], v[10:11]
	v_mul_f64_e32 v[56:57], v[56:57], v[16:17]
	v_add_nc_u64_e32 v[62:63], s[16:17], v[44:45]
	global_atomic_add_f64 v[62:63], v[58:59], off scope:SCOPE_DEV
	s_wait_xcnt 0x0
	v_add_nc_u64_e32 v[58:59], s[16:17], v[46:47]
	v_add_nc_u64_e32 v[62:63], s[16:17], v[48:49]
	global_atomic_add_f64 v[58:59], v[64:65], off scope:SCOPE_DEV
	s_wait_xcnt 0x0
	v_add_nc_u64_e32 v[58:59], s[16:17], v[50:51]
	global_atomic_add_f64 v[62:63], v[60:61], off scope:SCOPE_DEV
	s_wait_xcnt 0x0
	global_atomic_add_f64 v[58:59], v[56:57], off scope:SCOPE_DEV
	s_add_nc_u64 s[16:17], s[16:17], s[10:11]
	s_cbranch_scc0 .LBB8_14
	s_branch .LBB8_12
.LBB8_15:
	s_mov_b32 s2, 0
.LBB8_16:
	s_delay_alu instid0(SALU_CYCLE_1)
	s_and_b32 vcc_lo, exec_lo, s2
	s_cbranch_vccz .LBB8_22
; %bb.17:
	s_cmp_lt_i32 s4, 1
	s_cbranch_scc1 .LBB8_22
; %bb.18:
	s_clause 0x1
	s_load_b256 s[8:15], s[0:1], 0x90
	s_load_b256 s[16:23], s[0:1], 0x48
	v_dual_ashrrev_i32 v1, 31, v0 :: v_dual_ashrrev_i32 v3, 31, v2
	s_cmp_gt_i32 s6, 0
	s_mov_b32 s5, 0
	s_cselect_b32 s7, -1, 0
	s_wait_kmcnt 0x0
	v_mul_u64_e32 v[4:5], s[12:13], v[0:1]
	v_mul_u64_e32 v[0:1], s[20:21], v[0:1]
	;; [unrolled: 1-line block ×4, first 2 shown]
	s_clause 0x1
	s_load_b64 s[2:3], s[0:1], 0x68
	s_load_b64 s[12:13], s[0:1], 0x20
	s_wait_xcnt 0x0
	s_lshl_b64 s[0:1], s[16:17], 3
	s_lshl_b64 s[8:9], s[8:9], 3
	;; [unrolled: 1-line block ×3, first 2 shown]
	s_wait_kmcnt 0x0
	s_delay_alu instid0(VALU_DEP_4) | instskip(NEXT) | instid1(VALU_DEP_4)
	v_lshl_add_u64 v[4:5], v[4:5], 3, s[2:3]
	v_lshl_add_u64 v[8:9], v[0:1], 3, s[12:13]
	s_lshl_b64 s[2:3], s[18:19], 3
	s_delay_alu instid0(VALU_DEP_2) | instskip(NEXT) | instid1(VALU_DEP_2)
	v_lshl_add_u64 v[0:1], v[6:7], 3, v[4:5]
	v_lshl_add_u64 v[2:3], v[2:3], 3, v[8:9]
	s_branch .LBB8_20
.LBB8_19:                               ;   in Loop: Header=BB8_20 Depth=1
	v_add_nc_u64_e32 v[2:3], s[0:1], v[2:3]
	v_add_nc_u64_e32 v[0:1], s[8:9], v[0:1]
	s_add_co_i32 s5, s5, 1
	s_delay_alu instid0(SALU_CYCLE_1)
	s_cmp_eq_u32 s5, s4
	s_cbranch_scc1 .LBB8_22
.LBB8_20:                               ; =>This Loop Header: Depth=1
                                        ;     Child Loop BB8_21 Depth 2
	s_delay_alu instid0(VALU_DEP_1) | instskip(NEXT) | instid1(VALU_DEP_2)
	v_mov_b64_e32 v[4:5], v[0:1]
	v_mov_b64_e32 v[6:7], v[2:3]
	s_and_not1_b32 vcc_lo, exec_lo, s7
	s_mov_b32 s12, s6
	s_cbranch_vccnz .LBB8_19
.LBB8_21:                               ;   Parent Loop BB8_20 Depth=1
                                        ; =>  This Inner Loop Header: Depth=2
	global_load_b64 v[8:9], v[4:5], off
	s_wait_xcnt 0x0
	v_add_nc_u64_e32 v[4:5], s[10:11], v[4:5]
	s_add_co_i32 s12, s12, -1
	s_delay_alu instid0(SALU_CYCLE_1)
	s_cmp_eq_u32 s12, 0
	s_wait_loadcnt 0x0
	global_store_b64 v[6:7], v[8:9], off
	s_wait_xcnt 0x0
	v_add_nc_u64_e32 v[6:7], s[2:3], v[6:7]
	s_cbranch_scc0 .LBB8_21
	s_branch .LBB8_19
.LBB8_22:
	s_sendmsg sendmsg(MSG_DEALLOC_VGPRS)
	s_endpgm
	.section	.rodata,"a",@progbits
	.p2align	6, 0x0
	.amdhsa_kernel _ZN2at6native12_GLOBAL__N_137upsample_bicubic2d_backward_out_frameIddEEviT0_S3_bN5torch10headeronly6detail27GenericPackedTensorAccessorINS6_14TensorAccessorIN3c108ArrayRefIlEET_Lm3ENS5_16DefaultPtrTraitsElEENS_6detail16IndexBoundsCheckILm4ElEESC_Lm4ESD_lEENS7_INS8_ISB_KSC_Lm3ESD_lEESH_SJ_Lm4ESD_lEE
		.amdhsa_group_segment_fixed_size 0
		.amdhsa_private_segment_fixed_size 0
		.amdhsa_kernarg_size 432
		.amdhsa_user_sgpr_count 2
		.amdhsa_user_sgpr_dispatch_ptr 0
		.amdhsa_user_sgpr_queue_ptr 0
		.amdhsa_user_sgpr_kernarg_segment_ptr 1
		.amdhsa_user_sgpr_dispatch_id 0
		.amdhsa_user_sgpr_kernarg_preload_length 0
		.amdhsa_user_sgpr_kernarg_preload_offset 0
		.amdhsa_user_sgpr_private_segment_size 0
		.amdhsa_wavefront_size32 1
		.amdhsa_uses_dynamic_stack 0
		.amdhsa_enable_private_segment 0
		.amdhsa_system_sgpr_workgroup_id_x 1
		.amdhsa_system_sgpr_workgroup_id_y 0
		.amdhsa_system_sgpr_workgroup_id_z 0
		.amdhsa_system_sgpr_workgroup_info 0
		.amdhsa_system_vgpr_workitem_id 0
		.amdhsa_next_free_vgpr 66
		.amdhsa_next_free_sgpr 28
		.amdhsa_named_barrier_count 0
		.amdhsa_reserve_vcc 1
		.amdhsa_float_round_mode_32 0
		.amdhsa_float_round_mode_16_64 0
		.amdhsa_float_denorm_mode_32 3
		.amdhsa_float_denorm_mode_16_64 3
		.amdhsa_fp16_overflow 0
		.amdhsa_memory_ordered 1
		.amdhsa_forward_progress 1
		.amdhsa_inst_pref_size 17
		.amdhsa_round_robin_scheduling 0
		.amdhsa_exception_fp_ieee_invalid_op 0
		.amdhsa_exception_fp_denorm_src 0
		.amdhsa_exception_fp_ieee_div_zero 0
		.amdhsa_exception_fp_ieee_overflow 0
		.amdhsa_exception_fp_ieee_underflow 0
		.amdhsa_exception_fp_ieee_inexact 0
		.amdhsa_exception_int_div_zero 0
	.end_amdhsa_kernel
	.section	.text._ZN2at6native12_GLOBAL__N_137upsample_bicubic2d_backward_out_frameIddEEviT0_S3_bN5torch10headeronly6detail27GenericPackedTensorAccessorINS6_14TensorAccessorIN3c108ArrayRefIlEET_Lm3ENS5_16DefaultPtrTraitsElEENS_6detail16IndexBoundsCheckILm4ElEESC_Lm4ESD_lEENS7_INS8_ISB_KSC_Lm3ESD_lEESH_SJ_Lm4ESD_lEE,"axG",@progbits,_ZN2at6native12_GLOBAL__N_137upsample_bicubic2d_backward_out_frameIddEEviT0_S3_bN5torch10headeronly6detail27GenericPackedTensorAccessorINS6_14TensorAccessorIN3c108ArrayRefIlEET_Lm3ENS5_16DefaultPtrTraitsElEENS_6detail16IndexBoundsCheckILm4ElEESC_Lm4ESD_lEENS7_INS8_ISB_KSC_Lm3ESD_lEESH_SJ_Lm4ESD_lEE,comdat
.Lfunc_end8:
	.size	_ZN2at6native12_GLOBAL__N_137upsample_bicubic2d_backward_out_frameIddEEviT0_S3_bN5torch10headeronly6detail27GenericPackedTensorAccessorINS6_14TensorAccessorIN3c108ArrayRefIlEET_Lm3ENS5_16DefaultPtrTraitsElEENS_6detail16IndexBoundsCheckILm4ElEESC_Lm4ESD_lEENS7_INS8_ISB_KSC_Lm3ESD_lEESH_SJ_Lm4ESD_lEE, .Lfunc_end8-_ZN2at6native12_GLOBAL__N_137upsample_bicubic2d_backward_out_frameIddEEviT0_S3_bN5torch10headeronly6detail27GenericPackedTensorAccessorINS6_14TensorAccessorIN3c108ArrayRefIlEET_Lm3ENS5_16DefaultPtrTraitsElEENS_6detail16IndexBoundsCheckILm4ElEESC_Lm4ESD_lEENS7_INS8_ISB_KSC_Lm3ESD_lEESH_SJ_Lm4ESD_lEE
                                        ; -- End function
	.set _ZN2at6native12_GLOBAL__N_137upsample_bicubic2d_backward_out_frameIddEEviT0_S3_bN5torch10headeronly6detail27GenericPackedTensorAccessorINS6_14TensorAccessorIN3c108ArrayRefIlEET_Lm3ENS5_16DefaultPtrTraitsElEENS_6detail16IndexBoundsCheckILm4ElEESC_Lm4ESD_lEENS7_INS8_ISB_KSC_Lm3ESD_lEESH_SJ_Lm4ESD_lEE.num_vgpr, 66
	.set _ZN2at6native12_GLOBAL__N_137upsample_bicubic2d_backward_out_frameIddEEviT0_S3_bN5torch10headeronly6detail27GenericPackedTensorAccessorINS6_14TensorAccessorIN3c108ArrayRefIlEET_Lm3ENS5_16DefaultPtrTraitsElEENS_6detail16IndexBoundsCheckILm4ElEESC_Lm4ESD_lEENS7_INS8_ISB_KSC_Lm3ESD_lEESH_SJ_Lm4ESD_lEE.num_agpr, 0
	.set _ZN2at6native12_GLOBAL__N_137upsample_bicubic2d_backward_out_frameIddEEviT0_S3_bN5torch10headeronly6detail27GenericPackedTensorAccessorINS6_14TensorAccessorIN3c108ArrayRefIlEET_Lm3ENS5_16DefaultPtrTraitsElEENS_6detail16IndexBoundsCheckILm4ElEESC_Lm4ESD_lEENS7_INS8_ISB_KSC_Lm3ESD_lEESH_SJ_Lm4ESD_lEE.numbered_sgpr, 28
	.set _ZN2at6native12_GLOBAL__N_137upsample_bicubic2d_backward_out_frameIddEEviT0_S3_bN5torch10headeronly6detail27GenericPackedTensorAccessorINS6_14TensorAccessorIN3c108ArrayRefIlEET_Lm3ENS5_16DefaultPtrTraitsElEENS_6detail16IndexBoundsCheckILm4ElEESC_Lm4ESD_lEENS7_INS8_ISB_KSC_Lm3ESD_lEESH_SJ_Lm4ESD_lEE.num_named_barrier, 0
	.set _ZN2at6native12_GLOBAL__N_137upsample_bicubic2d_backward_out_frameIddEEviT0_S3_bN5torch10headeronly6detail27GenericPackedTensorAccessorINS6_14TensorAccessorIN3c108ArrayRefIlEET_Lm3ENS5_16DefaultPtrTraitsElEENS_6detail16IndexBoundsCheckILm4ElEESC_Lm4ESD_lEENS7_INS8_ISB_KSC_Lm3ESD_lEESH_SJ_Lm4ESD_lEE.private_seg_size, 0
	.set _ZN2at6native12_GLOBAL__N_137upsample_bicubic2d_backward_out_frameIddEEviT0_S3_bN5torch10headeronly6detail27GenericPackedTensorAccessorINS6_14TensorAccessorIN3c108ArrayRefIlEET_Lm3ENS5_16DefaultPtrTraitsElEENS_6detail16IndexBoundsCheckILm4ElEESC_Lm4ESD_lEENS7_INS8_ISB_KSC_Lm3ESD_lEESH_SJ_Lm4ESD_lEE.uses_vcc, 1
	.set _ZN2at6native12_GLOBAL__N_137upsample_bicubic2d_backward_out_frameIddEEviT0_S3_bN5torch10headeronly6detail27GenericPackedTensorAccessorINS6_14TensorAccessorIN3c108ArrayRefIlEET_Lm3ENS5_16DefaultPtrTraitsElEENS_6detail16IndexBoundsCheckILm4ElEESC_Lm4ESD_lEENS7_INS8_ISB_KSC_Lm3ESD_lEESH_SJ_Lm4ESD_lEE.uses_flat_scratch, 0
	.set _ZN2at6native12_GLOBAL__N_137upsample_bicubic2d_backward_out_frameIddEEviT0_S3_bN5torch10headeronly6detail27GenericPackedTensorAccessorINS6_14TensorAccessorIN3c108ArrayRefIlEET_Lm3ENS5_16DefaultPtrTraitsElEENS_6detail16IndexBoundsCheckILm4ElEESC_Lm4ESD_lEENS7_INS8_ISB_KSC_Lm3ESD_lEESH_SJ_Lm4ESD_lEE.has_dyn_sized_stack, 0
	.set _ZN2at6native12_GLOBAL__N_137upsample_bicubic2d_backward_out_frameIddEEviT0_S3_bN5torch10headeronly6detail27GenericPackedTensorAccessorINS6_14TensorAccessorIN3c108ArrayRefIlEET_Lm3ENS5_16DefaultPtrTraitsElEENS_6detail16IndexBoundsCheckILm4ElEESC_Lm4ESD_lEENS7_INS8_ISB_KSC_Lm3ESD_lEESH_SJ_Lm4ESD_lEE.has_recursion, 0
	.set _ZN2at6native12_GLOBAL__N_137upsample_bicubic2d_backward_out_frameIddEEviT0_S3_bN5torch10headeronly6detail27GenericPackedTensorAccessorINS6_14TensorAccessorIN3c108ArrayRefIlEET_Lm3ENS5_16DefaultPtrTraitsElEENS_6detail16IndexBoundsCheckILm4ElEESC_Lm4ESD_lEENS7_INS8_ISB_KSC_Lm3ESD_lEESH_SJ_Lm4ESD_lEE.has_indirect_call, 0
	.section	.AMDGPU.csdata,"",@progbits
; Kernel info:
; codeLenInByte = 2060
; TotalNumSgprs: 30
; NumVgprs: 66
; ScratchSize: 0
; MemoryBound: 0
; FloatMode: 240
; IeeeMode: 1
; LDSByteSize: 0 bytes/workgroup (compile time only)
; SGPRBlocks: 0
; VGPRBlocks: 4
; NumSGPRsForWavesPerEU: 30
; NumVGPRsForWavesPerEU: 66
; NamedBarCnt: 0
; Occupancy: 12
; WaveLimiterHint : 1
; COMPUTE_PGM_RSRC2:SCRATCH_EN: 0
; COMPUTE_PGM_RSRC2:USER_SGPR: 2
; COMPUTE_PGM_RSRC2:TRAP_HANDLER: 0
; COMPUTE_PGM_RSRC2:TGID_X_EN: 1
; COMPUTE_PGM_RSRC2:TGID_Y_EN: 0
; COMPUTE_PGM_RSRC2:TGID_Z_EN: 0
; COMPUTE_PGM_RSRC2:TIDIG_COMP_CNT: 0
	.section	.text._ZN2at6native12_GLOBAL__N_137upsample_bicubic2d_backward_out_frameIffEEviT0_S3_bN5torch10headeronly6detail27GenericPackedTensorAccessorINS6_14TensorAccessorIN3c108ArrayRefIlEET_Lm3ENS5_16DefaultPtrTraitsElEENS_6detail16IndexBoundsCheckILm4ElEESC_Lm4ESD_lEENS7_INS8_ISB_KSC_Lm3ESD_lEESH_SJ_Lm4ESD_lEE,"axG",@progbits,_ZN2at6native12_GLOBAL__N_137upsample_bicubic2d_backward_out_frameIffEEviT0_S3_bN5torch10headeronly6detail27GenericPackedTensorAccessorINS6_14TensorAccessorIN3c108ArrayRefIlEET_Lm3ENS5_16DefaultPtrTraitsElEENS_6detail16IndexBoundsCheckILm4ElEESC_Lm4ESD_lEENS7_INS8_ISB_KSC_Lm3ESD_lEESH_SJ_Lm4ESD_lEE,comdat
	.globl	_ZN2at6native12_GLOBAL__N_137upsample_bicubic2d_backward_out_frameIffEEviT0_S3_bN5torch10headeronly6detail27GenericPackedTensorAccessorINS6_14TensorAccessorIN3c108ArrayRefIlEET_Lm3ENS5_16DefaultPtrTraitsElEENS_6detail16IndexBoundsCheckILm4ElEESC_Lm4ESD_lEENS7_INS8_ISB_KSC_Lm3ESD_lEESH_SJ_Lm4ESD_lEE ; -- Begin function _ZN2at6native12_GLOBAL__N_137upsample_bicubic2d_backward_out_frameIffEEviT0_S3_bN5torch10headeronly6detail27GenericPackedTensorAccessorINS6_14TensorAccessorIN3c108ArrayRefIlEET_Lm3ENS5_16DefaultPtrTraitsElEENS_6detail16IndexBoundsCheckILm4ElEESC_Lm4ESD_lEENS7_INS8_ISB_KSC_Lm3ESD_lEESH_SJ_Lm4ESD_lEE
	.p2align	8
	.type	_ZN2at6native12_GLOBAL__N_137upsample_bicubic2d_backward_out_frameIffEEviT0_S3_bN5torch10headeronly6detail27GenericPackedTensorAccessorINS6_14TensorAccessorIN3c108ArrayRefIlEET_Lm3ENS5_16DefaultPtrTraitsElEENS_6detail16IndexBoundsCheckILm4ElEESC_Lm4ESD_lEENS7_INS8_ISB_KSC_Lm3ESD_lEESH_SJ_Lm4ESD_lEE,@function
_ZN2at6native12_GLOBAL__N_137upsample_bicubic2d_backward_out_frameIffEEviT0_S3_bN5torch10headeronly6detail27GenericPackedTensorAccessorINS6_14TensorAccessorIN3c108ArrayRefIlEET_Lm3ENS5_16DefaultPtrTraitsElEENS_6detail16IndexBoundsCheckILm4ElEESC_Lm4ESD_lEENS7_INS8_ISB_KSC_Lm3ESD_lEESH_SJ_Lm4ESD_lEE: ; @_ZN2at6native12_GLOBAL__N_137upsample_bicubic2d_backward_out_frameIffEEviT0_S3_bN5torch10headeronly6detail27GenericPackedTensorAccessorINS6_14TensorAccessorIN3c108ArrayRefIlEET_Lm3ENS5_16DefaultPtrTraitsElEENS_6detail16IndexBoundsCheckILm4ElEESC_Lm4ESD_lEENS7_INS8_ISB_KSC_Lm3ESD_lEESH_SJ_Lm4ESD_lEE
; %bb.0:
	s_clause 0x1
	s_load_b32 s2, s[0:1], 0xac
	s_load_b128 s[12:15], s[0:1], 0x0
	s_bfe_u32 s3, ttmp6, 0x4000c
	s_and_b32 s4, ttmp6, 15
	s_add_co_i32 s3, s3, 1
	s_getreg_b32 s5, hwreg(HW_REG_IB_STS2, 6, 4)
	s_mul_i32 s3, ttmp9, s3
	s_delay_alu instid0(SALU_CYCLE_1) | instskip(SKIP_4) | instid1(SALU_CYCLE_1)
	s_add_co_i32 s4, s4, s3
	s_wait_kmcnt 0x0
	s_and_b32 s2, s2, 0xffff
	s_cmp_eq_u32 s5, 0
	s_cselect_b32 s3, ttmp9, s4
	v_mad_u32 v1, s3, s2, v0
	s_mov_b32 s2, exec_lo
	s_delay_alu instid0(VALU_DEP_1)
	v_cmpx_gt_i32_e64 s12, v1
	s_cbranch_execz .LBB9_14
; %bb.1:
	s_load_b128 s[16:19], s[0:1], 0x70
	s_wait_kmcnt 0x0
	s_abs_i32 s2, s18
	s_delay_alu instid0(SALU_CYCLE_1) | instskip(SKIP_1) | instid1(SALU_CYCLE_2)
	s_cvt_f32_u32 s3, s2
	s_sub_co_i32 s4, 0, s2
	v_rcp_iflag_f32_e32 v0, s3
	v_nop
	s_delay_alu instid0(TRANS32_DEP_1) | instskip(SKIP_2) | instid1(VALU_DEP_1)
	v_readfirstlane_b32 s3, v0
	v_sub_nc_u32_e32 v0, 0, v1
	s_mul_f32 s3, s3, 0x4f7ffffe
	v_max_i32_e32 v0, v1, v0
	s_delay_alu instid0(SALU_CYCLE_2) | instskip(NEXT) | instid1(SALU_CYCLE_3)
	s_cvt_u32_f32 s3, s3
	s_mul_i32 s4, s4, s3
	s_delay_alu instid0(SALU_CYCLE_1) | instskip(NEXT) | instid1(SALU_CYCLE_1)
	s_mul_hi_u32 s4, s3, s4
	s_add_co_i32 s3, s3, s4
	s_load_b256 s[4:11], s[0:1], 0x18
	v_mul_hi_u32 v2, v0, s3
	s_delay_alu instid0(VALU_DEP_1) | instskip(SKIP_2) | instid1(VALU_DEP_1)
	v_mul_lo_u32 v3, v2, s2
	s_wait_kmcnt 0x0
	s_cmp_lg_u32 s8, s16
	v_dual_sub_nc_u32 v0, v0, v3 :: v_dual_add_nc_u32 v3, 1, v2
	s_delay_alu instid0(VALU_DEP_1) | instskip(NEXT) | instid1(VALU_DEP_2)
	v_cmp_le_u32_e32 vcc_lo, s2, v0
	v_dual_cndmask_b32 v2, v2, v3, vcc_lo :: v_dual_bitop2_b32 v3, s18, v1 bitop3:0x14
	v_subrev_nc_u32_e32 v4, s2, v0
	s_delay_alu instid0(VALU_DEP_1) | instskip(NEXT) | instid1(VALU_DEP_1)
	v_dual_cndmask_b32 v0, v0, v4, vcc_lo :: v_dual_add_nc_u32 v4, 1, v2
	v_cmp_le_u32_e32 vcc_lo, s2, v0
	s_delay_alu instid0(VALU_DEP_4) | instskip(SKIP_4) | instid1(SALU_CYCLE_1)
	v_ashrrev_i32_e32 v3, 31, v3
	s_cselect_b32 s2, -1, 0
	s_cmp_lg_u32 s10, s18
	v_cndmask_b32_e32 v0, v2, v4, vcc_lo
	s_cselect_b32 s3, -1, 0
	s_or_b32 s2, s3, s2
	s_delay_alu instid0(VALU_DEP_1) | instskip(SKIP_2) | instid1(VALU_DEP_1)
	v_xor_b32_e32 v0, v0, v3
	s_and_b32 vcc_lo, exec_lo, s2
	s_mov_b32 s2, -1
	v_sub_nc_u32_e32 v0, v0, v3
	s_delay_alu instid0(VALU_DEP_1) | instskip(NEXT) | instid1(VALU_DEP_1)
	v_mul_lo_u32 v2, v0, s18
	v_sub_nc_u32_e32 v2, v1, v2
	s_cbranch_vccz .LBB9_8
; %bb.2:
	s_cmp_lt_i32 s4, 1
	s_cbranch_scc1 .LBB9_7
; %bb.3:
	s_delay_alu instid0(VALU_DEP_1) | instskip(SKIP_4) | instid1(VALU_DEP_1)
	v_cvt_f32_i32_e32 v1, v2
	v_cvt_f32_i32_e32 v3, v0
	s_bitcmp1_b32 s15, 0
	s_mov_b32 s2, 0xbf400000
	s_cselect_b32 vcc_lo, -1, 0
	v_dual_add_f32 v4, 0.5, v1 :: v_dual_add_f32 v5, 0.5, v3
	v_dual_mul_f32 v1, s14, v1 :: v_dual_mul_f32 v3, s13, v3
	s_cmp_gt_i32 s6, 0
	s_delay_alu instid0(VALU_DEP_2) | instskip(NEXT) | instid1(VALU_DEP_3)
	v_fma_f32 v4, s14, v4, -0.5
	v_fma_f32 v6, s13, v5, -0.5
	v_mov_b32_e32 v5, 0
	s_load_b256 s[12:19], s[0:1], 0x38
	s_mov_b32 s3, 0x3fa00000
	s_delay_alu instid0(VALU_DEP_2) | instskip(SKIP_3) | instid1(VALU_DEP_2)
	v_dual_cndmask_b32 v4, v4, v1 :: v_dual_cndmask_b32 v3, v6, v3
	v_ashrrev_i32_e32 v1, 31, v0
	s_cselect_b32 s5, -1, 0
	s_add_co_i32 s7, s8, -1
	v_floor_f32_e32 v6, v4
	v_floor_f32_e32 v8, v3
	s_load_b256 s[20:27], s[0:1], 0x80
	s_add_co_i32 s8, s10, -1
	v_dual_mov_b32 v7, v5 :: v_dual_mov_b32 v9, v5
	v_cvt_i32_f32_e32 v6, v6
	v_cvt_i32_f32_e32 v20, v8
	v_mov_b32_e32 v11, v5
	s_delay_alu instid0(VALU_DEP_3) | instskip(NEXT) | instid1(VALU_DEP_3)
	v_cvt_f32_i32_e32 v10, v6
	v_cvt_f32_i32_e32 v12, v20
	v_dual_add_nc_u32 v13, -1, v20 :: v_dual_add_nc_u32 v16, 2, v6
	s_delay_alu instid0(VALU_DEP_3) | instskip(NEXT) | instid1(VALU_DEP_3)
	v_dual_add_nc_u32 v17, 1, v20 :: v_dual_sub_f32 v15, v4, v10
	v_dual_sub_f32 v24, v3, v12 :: v_dual_add_nc_u32 v14, -1, v6
	v_add_nc_u32_e32 v10, 1, v6
	s_delay_alu instid0(VALU_DEP_4) | instskip(NEXT) | instid1(VALU_DEP_4)
	v_minmax_i32 v4, v13, s7, 0
	v_dual_add_f32 v3, 1.0, v15 :: v_dual_sub_f32 v22, 1.0, v15
	v_fmaak_f32 v12, s3, v15, 0xc0100000
	v_minmax_i32 v8, v6, s8, 0
	v_minmax_i32 v6, v14, s8, 0
	s_delay_alu instid0(VALU_DEP_4) | instskip(SKIP_2) | instid1(VALU_DEP_3)
	v_dual_add_f32 v25, 1.0, v24 :: v_dual_fmaak_f32 v14, s3, v22, 0xc0100000
	v_add_f32_e32 v23, 1.0, v22
	v_dual_fmaak_f32 v13, s2, v3, 0x40700000 :: v_dual_mul_f32 v12, v15, v12
	v_dual_sub_f32 v27, 1.0, v24 :: v_dual_mul_f32 v26, v22, v14
	s_delay_alu instid0(VALU_DEP_3) | instskip(NEXT) | instid1(VALU_DEP_3)
	v_fmaak_f32 v18, s2, v23, 0x40700000
	v_fmaak_f32 v13, v3, v13, 0xc0c00000
	v_minmax_i32 v10, v10, s8, 0
	v_fma_f32 v40, v15, v12, 1.0
	v_minmax_i32 v12, v16, s8, 0
	v_minmax_i32 v14, v20, s7, 0
	v_fmaak_f32 v41, v3, v13, 0x40400000
	v_mov_b32_e32 v13, v5
	v_fmaak_f32 v3, v23, v18, 0xc0c00000
	s_wait_kmcnt 0x0
	v_mul_u64_e32 v[18:19], s[16:17], v[4:5]
	v_dual_mov_b32 v15, v5 :: v_dual_add_nc_u32 v4, 2, v20
	v_minmax_i32 v16, v17, s7, 0
	v_mov_b32_e32 v17, v5
	v_mul_u64_e32 v[20:21], s[24:25], v[0:1]
	s_delay_alu instid0(VALU_DEP_4)
	v_minmax_i32 v4, v4, s7, 0
	v_fma_f32 v1, v22, v26, 1.0
	v_add_f32_e32 v26, 1.0, v27
	v_mul_u64_e32 v[6:7], s[18:19], v[6:7]
	v_mul_u64_e32 v[8:9], s[18:19], v[8:9]
	;; [unrolled: 1-line block ×6, first 2 shown]
	v_fmaak_f32 v42, v23, v3, 0x40400000
	v_mul_u64_e32 v[22:23], s[16:17], v[4:5]
	v_dual_fmaak_f32 v4, s2, v25, 0x40700000 :: v_dual_fmaak_f32 v29, s2, v26, 0x40700000
	v_ashrrev_i32_e32 v3, 31, v2
	s_load_b64 s[8:9], s[0:1], 0x58
	v_dual_fmaak_f32 v5, s3, v24, 0xc0100000 :: v_dual_fmaak_f32 v28, s3, v27, 0xc0100000
	s_delay_alu instid0(VALU_DEP_3) | instskip(NEXT) | instid1(VALU_DEP_3)
	v_fmaak_f32 v4, v25, v4, 0xc0c00000
	v_mul_u64_e32 v[36:37], s[26:27], v[2:3]
	s_load_b64 s[2:3], s[0:1], 0x10
	s_delay_alu instid0(VALU_DEP_3) | instskip(SKIP_3) | instid1(VALU_DEP_3)
	v_dual_mul_f32 v5, v24, v5 :: v_dual_mul_f32 v28, v27, v28
	v_fmaak_f32 v29, v26, v29, 0xc0c00000
	v_fmaak_f32 v3, v25, v4, 0x40400000
	s_mov_b32 s7, 0
	v_fma_f32 v43, v24, v5, 1.0
	v_fma_f32 v44, v27, v28, 1.0
	v_fmaak_f32 v45, v26, v29, 0x40400000
	v_lshlrev_b64_e32 v[18:19], 2, v[18:19]
	s_lshl_b64 s[10:11], s[14:15], 2
	s_lshl_b64 s[14:15], s[22:23], 2
	s_wait_kmcnt 0x0
	v_lshl_add_u64 v[38:39], v[20:21], 2, s[8:9]
	v_lshlrev_b64_e32 v[28:29], 2, v[6:7]
	v_lshlrev_b64_e32 v[30:31], 2, v[8:9]
	;; [unrolled: 1-line block ×6, first 2 shown]
	s_lshl_b64 s[8:9], s[12:13], 2
	v_lshlrev_b64_e32 v[46:47], 2, v[22:23]
	v_add_nc_u64_e32 v[4:5], v[18:19], v[28:29]
	v_add_nc_u64_e32 v[6:7], v[30:31], v[18:19]
	v_add_nc_u64_e32 v[8:9], v[18:19], v[32:33]
	v_add_nc_u64_e32 v[10:11], v[18:19], v[34:35]
	v_add_nc_u64_e32 v[12:13], v[24:25], v[28:29]
	v_add_nc_u64_e32 v[14:15], v[24:25], v[30:31]
	v_add_nc_u64_e32 v[16:17], v[24:25], v[32:33]
	v_add_nc_u64_e32 v[18:19], v[24:25], v[34:35]
	v_add_nc_u64_e32 v[20:21], v[28:29], v[26:27]
	v_add_nc_u64_e32 v[22:23], v[30:31], v[26:27]
	v_add_nc_u64_e32 v[24:25], v[26:27], v[32:33]
	v_add_nc_u64_e32 v[26:27], v[34:35], v[26:27]
	v_add_nc_u64_e32 v[28:29], v[28:29], v[46:47]
	v_add_nc_u64_e32 v[30:31], v[30:31], v[46:47]
	v_add_nc_u64_e32 v[32:33], v[46:47], v[32:33]
	v_add_nc_u64_e32 v[34:35], v[46:47], v[34:35]
	v_lshl_add_u64 v[36:37], v[36:37], 2, v[38:39]
	s_lshl_b64 s[12:13], s[20:21], 2
	s_branch .LBB9_5
.LBB9_4:                                ;   in Loop: Header=BB9_5 Depth=1
	v_add_nc_u64_e32 v[36:37], s[12:13], v[36:37]
	s_add_co_i32 s7, s7, 1
	s_add_nc_u64 s[2:3], s[2:3], s[8:9]
	s_cmp_eq_u32 s7, s4
	s_cbranch_scc1 .LBB9_7
.LBB9_5:                                ; =>This Loop Header: Depth=1
                                        ;     Child Loop BB9_6 Depth 2
	s_delay_alu instid0(VALU_DEP_1)
	v_mov_b64_e32 v[38:39], v[36:37]
	s_and_not1_b32 vcc_lo, exec_lo, s5
	s_mov_b64 s[16:17], s[2:3]
	s_mov_b32 s18, s6
	s_cbranch_vccnz .LBB9_4
.LBB9_6:                                ;   Parent Loop BB9_5 Depth=1
                                        ; =>  This Inner Loop Header: Depth=2
	global_load_b32 v62, v[38:39], off
	s_wait_xcnt 0x1
	v_add_nc_u64_e32 v[46:47], s[16:17], v[4:5]
	v_add_nc_u64_e32 v[48:49], s[16:17], v[6:7]
	;; [unrolled: 1-line block ×7, first 2 shown]
	s_wait_xcnt 0x0
	v_add_nc_u64_e32 v[38:39], s[14:15], v[38:39]
	s_add_co_i32 s18, s18, -1
	s_delay_alu instid0(SALU_CYCLE_1) | instskip(SKIP_2) | instid1(VALU_DEP_1)
	s_cmp_eq_u32 s18, 0
	s_wait_loadcnt 0x0
	v_mul_f32_e32 v63, v62, v3
	v_mul_f32_e32 v60, v63, v41
	global_atomic_add_f32 v[46:47], v60, off scope:SCOPE_DEV
	s_wait_xcnt 0x0
	v_mul_f32_e32 v60, v63, v40
	v_add_nc_u64_e32 v[46:47], s[16:17], v[18:19]
	global_atomic_add_f32 v[48:49], v60, off scope:SCOPE_DEV
	s_wait_xcnt 0x0
	v_dual_mul_f32 v60, v63, v1 :: v_dual_mul_f32 v63, v63, v42
	v_add_nc_u64_e32 v[48:49], s[16:17], v[20:21]
	global_atomic_add_f32 v[50:51], v60, off scope:SCOPE_DEV
	s_wait_xcnt 0x0
	global_atomic_add_f32 v[52:53], v63, off scope:SCOPE_DEV
	s_wait_xcnt 0x0
	v_mul_f32_e32 v63, v62, v43
	v_add_nc_u64_e32 v[50:51], s[16:17], v[22:23]
	v_add_nc_u64_e32 v[60:61], s[16:17], v[24:25]
	s_delay_alu instid0(VALU_DEP_3)
	v_mul_f32_e32 v52, v63, v41
	global_atomic_add_f32 v[54:55], v52, off scope:SCOPE_DEV
	s_wait_xcnt 0x0
	v_mul_f32_e32 v54, v63, v40
	v_add_nc_u64_e32 v[52:53], s[16:17], v[26:27]
	global_atomic_add_f32 v[56:57], v54, off scope:SCOPE_DEV
	s_wait_xcnt 0x0
	v_dual_mul_f32 v56, v63, v1 :: v_dual_mul_f32 v63, v63, v42
	v_add_nc_u64_e32 v[54:55], s[16:17], v[28:29]
	global_atomic_add_f32 v[58:59], v56, off scope:SCOPE_DEV
	s_wait_xcnt 0x0
	global_atomic_add_f32 v[46:47], v63, off scope:SCOPE_DEV
	s_wait_xcnt 0x0
	v_mul_f32_e32 v63, v62, v44
	v_add_nc_u64_e32 v[56:57], s[16:17], v[30:31]
	v_add_nc_u64_e32 v[58:59], s[16:17], v[32:33]
	s_delay_alu instid0(VALU_DEP_3)
	v_mul_f32_e32 v46, v63, v41
	global_atomic_add_f32 v[48:49], v46, off scope:SCOPE_DEV
	s_wait_xcnt 0x0
	v_dual_mul_f32 v48, v62, v45 :: v_dual_mul_f32 v49, v63, v40
	v_dual_mul_f32 v62, v63, v1 :: v_dual_mul_f32 v63, v63, v42
	v_add_nc_u64_e32 v[46:47], s[16:17], v[34:35]
	s_add_nc_u64 s[16:17], s[16:17], s[10:11]
	global_atomic_add_f32 v[50:51], v49, off scope:SCOPE_DEV
	s_wait_xcnt 0x0
	v_dual_mul_f32 v49, v48, v41 :: v_dual_mul_f32 v50, v48, v40
	v_dual_mul_f32 v51, v48, v1 :: v_dual_mul_f32 v48, v48, v42
	global_atomic_add_f32 v[60:61], v62, off scope:SCOPE_DEV
	s_wait_xcnt 0x0
	global_atomic_add_f32 v[52:53], v63, off scope:SCOPE_DEV
	s_wait_xcnt 0x0
	;; [unrolled: 2-line block ×5, first 2 shown]
	global_atomic_add_f32 v[46:47], v48, off scope:SCOPE_DEV
	s_cbranch_scc0 .LBB9_6
	s_branch .LBB9_4
.LBB9_7:
	s_mov_b32 s2, 0
.LBB9_8:
	s_delay_alu instid0(SALU_CYCLE_1)
	s_and_not1_b32 vcc_lo, exec_lo, s2
	s_cbranch_vccnz .LBB9_14
; %bb.9:
	s_cmp_lt_i32 s4, 1
	s_cbranch_scc1 .LBB9_14
; %bb.10:
	s_clause 0x1
	s_load_b256 s[8:15], s[0:1], 0x80
	s_load_b256 s[16:23], s[0:1], 0x38
	v_dual_ashrrev_i32 v1, 31, v0 :: v_dual_ashrrev_i32 v3, 31, v2
	s_cmp_gt_i32 s6, 0
	s_mov_b32 s5, 0
	s_cselect_b32 s7, -1, 0
	s_wait_kmcnt 0x0
	v_mul_u64_e32 v[4:5], s[12:13], v[0:1]
	v_mul_u64_e32 v[0:1], s[20:21], v[0:1]
	;; [unrolled: 1-line block ×4, first 2 shown]
	s_clause 0x1
	s_load_b64 s[2:3], s[0:1], 0x58
	s_load_b64 s[12:13], s[0:1], 0x10
	s_wait_xcnt 0x0
	s_lshl_b64 s[0:1], s[16:17], 2
	s_lshl_b64 s[8:9], s[8:9], 2
	;; [unrolled: 1-line block ×3, first 2 shown]
	s_wait_kmcnt 0x0
	s_delay_alu instid0(VALU_DEP_4) | instskip(NEXT) | instid1(VALU_DEP_4)
	v_lshl_add_u64 v[4:5], v[4:5], 2, s[2:3]
	v_lshl_add_u64 v[8:9], v[0:1], 2, s[12:13]
	s_lshl_b64 s[2:3], s[18:19], 2
	s_delay_alu instid0(VALU_DEP_2) | instskip(NEXT) | instid1(VALU_DEP_2)
	v_lshl_add_u64 v[0:1], v[6:7], 2, v[4:5]
	v_lshl_add_u64 v[2:3], v[2:3], 2, v[8:9]
	s_branch .LBB9_12
.LBB9_11:                               ;   in Loop: Header=BB9_12 Depth=1
	v_add_nc_u64_e32 v[2:3], s[0:1], v[2:3]
	v_add_nc_u64_e32 v[0:1], s[8:9], v[0:1]
	s_add_co_i32 s5, s5, 1
	s_delay_alu instid0(SALU_CYCLE_1)
	s_cmp_eq_u32 s5, s4
	s_cbranch_scc1 .LBB9_14
.LBB9_12:                               ; =>This Loop Header: Depth=1
                                        ;     Child Loop BB9_13 Depth 2
	s_delay_alu instid0(VALU_DEP_1) | instskip(NEXT) | instid1(VALU_DEP_2)
	v_mov_b64_e32 v[4:5], v[0:1]
	v_mov_b64_e32 v[6:7], v[2:3]
	s_and_not1_b32 vcc_lo, exec_lo, s7
	s_mov_b32 s12, s6
	s_cbranch_vccnz .LBB9_11
.LBB9_13:                               ;   Parent Loop BB9_12 Depth=1
                                        ; =>  This Inner Loop Header: Depth=2
	global_load_b32 v8, v[4:5], off
	s_wait_xcnt 0x0
	v_add_nc_u64_e32 v[4:5], s[10:11], v[4:5]
	s_add_co_i32 s12, s12, -1
	s_delay_alu instid0(SALU_CYCLE_1)
	s_cmp_eq_u32 s12, 0
	s_wait_loadcnt 0x0
	global_store_b32 v[6:7], v8, off
	s_wait_xcnt 0x0
	v_add_nc_u64_e32 v[6:7], s[2:3], v[6:7]
	s_cbranch_scc0 .LBB9_13
	s_branch .LBB9_11
.LBB9_14:
	s_endpgm
	.section	.rodata,"a",@progbits
	.p2align	6, 0x0
	.amdhsa_kernel _ZN2at6native12_GLOBAL__N_137upsample_bicubic2d_backward_out_frameIffEEviT0_S3_bN5torch10headeronly6detail27GenericPackedTensorAccessorINS6_14TensorAccessorIN3c108ArrayRefIlEET_Lm3ENS5_16DefaultPtrTraitsElEENS_6detail16IndexBoundsCheckILm4ElEESC_Lm4ESD_lEENS7_INS8_ISB_KSC_Lm3ESD_lEESH_SJ_Lm4ESD_lEE
		.amdhsa_group_segment_fixed_size 0
		.amdhsa_private_segment_fixed_size 0
		.amdhsa_kernarg_size 416
		.amdhsa_user_sgpr_count 2
		.amdhsa_user_sgpr_dispatch_ptr 0
		.amdhsa_user_sgpr_queue_ptr 0
		.amdhsa_user_sgpr_kernarg_segment_ptr 1
		.amdhsa_user_sgpr_dispatch_id 0
		.amdhsa_user_sgpr_kernarg_preload_length 0
		.amdhsa_user_sgpr_kernarg_preload_offset 0
		.amdhsa_user_sgpr_private_segment_size 0
		.amdhsa_wavefront_size32 1
		.amdhsa_uses_dynamic_stack 0
		.amdhsa_enable_private_segment 0
		.amdhsa_system_sgpr_workgroup_id_x 1
		.amdhsa_system_sgpr_workgroup_id_y 0
		.amdhsa_system_sgpr_workgroup_id_z 0
		.amdhsa_system_sgpr_workgroup_info 0
		.amdhsa_system_vgpr_workitem_id 0
		.amdhsa_next_free_vgpr 64
		.amdhsa_next_free_sgpr 28
		.amdhsa_named_barrier_count 0
		.amdhsa_reserve_vcc 1
		.amdhsa_float_round_mode_32 0
		.amdhsa_float_round_mode_16_64 0
		.amdhsa_float_denorm_mode_32 3
		.amdhsa_float_denorm_mode_16_64 3
		.amdhsa_fp16_overflow 0
		.amdhsa_memory_ordered 1
		.amdhsa_forward_progress 1
		.amdhsa_inst_pref_size 15
		.amdhsa_round_robin_scheduling 0
		.amdhsa_exception_fp_ieee_invalid_op 0
		.amdhsa_exception_fp_denorm_src 0
		.amdhsa_exception_fp_ieee_div_zero 0
		.amdhsa_exception_fp_ieee_overflow 0
		.amdhsa_exception_fp_ieee_underflow 0
		.amdhsa_exception_fp_ieee_inexact 0
		.amdhsa_exception_int_div_zero 0
	.end_amdhsa_kernel
	.section	.text._ZN2at6native12_GLOBAL__N_137upsample_bicubic2d_backward_out_frameIffEEviT0_S3_bN5torch10headeronly6detail27GenericPackedTensorAccessorINS6_14TensorAccessorIN3c108ArrayRefIlEET_Lm3ENS5_16DefaultPtrTraitsElEENS_6detail16IndexBoundsCheckILm4ElEESC_Lm4ESD_lEENS7_INS8_ISB_KSC_Lm3ESD_lEESH_SJ_Lm4ESD_lEE,"axG",@progbits,_ZN2at6native12_GLOBAL__N_137upsample_bicubic2d_backward_out_frameIffEEviT0_S3_bN5torch10headeronly6detail27GenericPackedTensorAccessorINS6_14TensorAccessorIN3c108ArrayRefIlEET_Lm3ENS5_16DefaultPtrTraitsElEENS_6detail16IndexBoundsCheckILm4ElEESC_Lm4ESD_lEENS7_INS8_ISB_KSC_Lm3ESD_lEESH_SJ_Lm4ESD_lEE,comdat
.Lfunc_end9:
	.size	_ZN2at6native12_GLOBAL__N_137upsample_bicubic2d_backward_out_frameIffEEviT0_S3_bN5torch10headeronly6detail27GenericPackedTensorAccessorINS6_14TensorAccessorIN3c108ArrayRefIlEET_Lm3ENS5_16DefaultPtrTraitsElEENS_6detail16IndexBoundsCheckILm4ElEESC_Lm4ESD_lEENS7_INS8_ISB_KSC_Lm3ESD_lEESH_SJ_Lm4ESD_lEE, .Lfunc_end9-_ZN2at6native12_GLOBAL__N_137upsample_bicubic2d_backward_out_frameIffEEviT0_S3_bN5torch10headeronly6detail27GenericPackedTensorAccessorINS6_14TensorAccessorIN3c108ArrayRefIlEET_Lm3ENS5_16DefaultPtrTraitsElEENS_6detail16IndexBoundsCheckILm4ElEESC_Lm4ESD_lEENS7_INS8_ISB_KSC_Lm3ESD_lEESH_SJ_Lm4ESD_lEE
                                        ; -- End function
	.set _ZN2at6native12_GLOBAL__N_137upsample_bicubic2d_backward_out_frameIffEEviT0_S3_bN5torch10headeronly6detail27GenericPackedTensorAccessorINS6_14TensorAccessorIN3c108ArrayRefIlEET_Lm3ENS5_16DefaultPtrTraitsElEENS_6detail16IndexBoundsCheckILm4ElEESC_Lm4ESD_lEENS7_INS8_ISB_KSC_Lm3ESD_lEESH_SJ_Lm4ESD_lEE.num_vgpr, 64
	.set _ZN2at6native12_GLOBAL__N_137upsample_bicubic2d_backward_out_frameIffEEviT0_S3_bN5torch10headeronly6detail27GenericPackedTensorAccessorINS6_14TensorAccessorIN3c108ArrayRefIlEET_Lm3ENS5_16DefaultPtrTraitsElEENS_6detail16IndexBoundsCheckILm4ElEESC_Lm4ESD_lEENS7_INS8_ISB_KSC_Lm3ESD_lEESH_SJ_Lm4ESD_lEE.num_agpr, 0
	.set _ZN2at6native12_GLOBAL__N_137upsample_bicubic2d_backward_out_frameIffEEviT0_S3_bN5torch10headeronly6detail27GenericPackedTensorAccessorINS6_14TensorAccessorIN3c108ArrayRefIlEET_Lm3ENS5_16DefaultPtrTraitsElEENS_6detail16IndexBoundsCheckILm4ElEESC_Lm4ESD_lEENS7_INS8_ISB_KSC_Lm3ESD_lEESH_SJ_Lm4ESD_lEE.numbered_sgpr, 28
	.set _ZN2at6native12_GLOBAL__N_137upsample_bicubic2d_backward_out_frameIffEEviT0_S3_bN5torch10headeronly6detail27GenericPackedTensorAccessorINS6_14TensorAccessorIN3c108ArrayRefIlEET_Lm3ENS5_16DefaultPtrTraitsElEENS_6detail16IndexBoundsCheckILm4ElEESC_Lm4ESD_lEENS7_INS8_ISB_KSC_Lm3ESD_lEESH_SJ_Lm4ESD_lEE.num_named_barrier, 0
	.set _ZN2at6native12_GLOBAL__N_137upsample_bicubic2d_backward_out_frameIffEEviT0_S3_bN5torch10headeronly6detail27GenericPackedTensorAccessorINS6_14TensorAccessorIN3c108ArrayRefIlEET_Lm3ENS5_16DefaultPtrTraitsElEENS_6detail16IndexBoundsCheckILm4ElEESC_Lm4ESD_lEENS7_INS8_ISB_KSC_Lm3ESD_lEESH_SJ_Lm4ESD_lEE.private_seg_size, 0
	.set _ZN2at6native12_GLOBAL__N_137upsample_bicubic2d_backward_out_frameIffEEviT0_S3_bN5torch10headeronly6detail27GenericPackedTensorAccessorINS6_14TensorAccessorIN3c108ArrayRefIlEET_Lm3ENS5_16DefaultPtrTraitsElEENS_6detail16IndexBoundsCheckILm4ElEESC_Lm4ESD_lEENS7_INS8_ISB_KSC_Lm3ESD_lEESH_SJ_Lm4ESD_lEE.uses_vcc, 1
	.set _ZN2at6native12_GLOBAL__N_137upsample_bicubic2d_backward_out_frameIffEEviT0_S3_bN5torch10headeronly6detail27GenericPackedTensorAccessorINS6_14TensorAccessorIN3c108ArrayRefIlEET_Lm3ENS5_16DefaultPtrTraitsElEENS_6detail16IndexBoundsCheckILm4ElEESC_Lm4ESD_lEENS7_INS8_ISB_KSC_Lm3ESD_lEESH_SJ_Lm4ESD_lEE.uses_flat_scratch, 0
	.set _ZN2at6native12_GLOBAL__N_137upsample_bicubic2d_backward_out_frameIffEEviT0_S3_bN5torch10headeronly6detail27GenericPackedTensorAccessorINS6_14TensorAccessorIN3c108ArrayRefIlEET_Lm3ENS5_16DefaultPtrTraitsElEENS_6detail16IndexBoundsCheckILm4ElEESC_Lm4ESD_lEENS7_INS8_ISB_KSC_Lm3ESD_lEESH_SJ_Lm4ESD_lEE.has_dyn_sized_stack, 0
	.set _ZN2at6native12_GLOBAL__N_137upsample_bicubic2d_backward_out_frameIffEEviT0_S3_bN5torch10headeronly6detail27GenericPackedTensorAccessorINS6_14TensorAccessorIN3c108ArrayRefIlEET_Lm3ENS5_16DefaultPtrTraitsElEENS_6detail16IndexBoundsCheckILm4ElEESC_Lm4ESD_lEENS7_INS8_ISB_KSC_Lm3ESD_lEESH_SJ_Lm4ESD_lEE.has_recursion, 0
	.set _ZN2at6native12_GLOBAL__N_137upsample_bicubic2d_backward_out_frameIffEEviT0_S3_bN5torch10headeronly6detail27GenericPackedTensorAccessorINS6_14TensorAccessorIN3c108ArrayRefIlEET_Lm3ENS5_16DefaultPtrTraitsElEENS_6detail16IndexBoundsCheckILm4ElEESC_Lm4ESD_lEENS7_INS8_ISB_KSC_Lm3ESD_lEESH_SJ_Lm4ESD_lEE.has_indirect_call, 0
	.section	.AMDGPU.csdata,"",@progbits
; Kernel info:
; codeLenInByte = 1860
; TotalNumSgprs: 30
; NumVgprs: 64
; ScratchSize: 0
; MemoryBound: 0
; FloatMode: 240
; IeeeMode: 1
; LDSByteSize: 0 bytes/workgroup (compile time only)
; SGPRBlocks: 0
; VGPRBlocks: 3
; NumSGPRsForWavesPerEU: 30
; NumVGPRsForWavesPerEU: 64
; NamedBarCnt: 0
; Occupancy: 16
; WaveLimiterHint : 1
; COMPUTE_PGM_RSRC2:SCRATCH_EN: 0
; COMPUTE_PGM_RSRC2:USER_SGPR: 2
; COMPUTE_PGM_RSRC2:TRAP_HANDLER: 0
; COMPUTE_PGM_RSRC2:TGID_X_EN: 1
; COMPUTE_PGM_RSRC2:TGID_Y_EN: 0
; COMPUTE_PGM_RSRC2:TGID_Z_EN: 0
; COMPUTE_PGM_RSRC2:TIDIG_COMP_CNT: 0
	.section	.text._ZN2at6native12_GLOBAL__N_137upsample_bicubic2d_backward_out_frameIN3c104HalfEfEEviT0_S5_bN5torch10headeronly6detail27GenericPackedTensorAccessorINS8_14TensorAccessorINS3_8ArrayRefIlEET_Lm3ENS7_16DefaultPtrTraitsElEENS_6detail16IndexBoundsCheckILm4ElEESD_Lm4ESE_lEENS9_INSA_ISC_KSD_Lm3ESE_lEESI_SK_Lm4ESE_lEE,"axG",@progbits,_ZN2at6native12_GLOBAL__N_137upsample_bicubic2d_backward_out_frameIN3c104HalfEfEEviT0_S5_bN5torch10headeronly6detail27GenericPackedTensorAccessorINS8_14TensorAccessorINS3_8ArrayRefIlEET_Lm3ENS7_16DefaultPtrTraitsElEENS_6detail16IndexBoundsCheckILm4ElEESD_Lm4ESE_lEENS9_INSA_ISC_KSD_Lm3ESE_lEESI_SK_Lm4ESE_lEE,comdat
	.globl	_ZN2at6native12_GLOBAL__N_137upsample_bicubic2d_backward_out_frameIN3c104HalfEfEEviT0_S5_bN5torch10headeronly6detail27GenericPackedTensorAccessorINS8_14TensorAccessorINS3_8ArrayRefIlEET_Lm3ENS7_16DefaultPtrTraitsElEENS_6detail16IndexBoundsCheckILm4ElEESD_Lm4ESE_lEENS9_INSA_ISC_KSD_Lm3ESE_lEESI_SK_Lm4ESE_lEE ; -- Begin function _ZN2at6native12_GLOBAL__N_137upsample_bicubic2d_backward_out_frameIN3c104HalfEfEEviT0_S5_bN5torch10headeronly6detail27GenericPackedTensorAccessorINS8_14TensorAccessorINS3_8ArrayRefIlEET_Lm3ENS7_16DefaultPtrTraitsElEENS_6detail16IndexBoundsCheckILm4ElEESD_Lm4ESE_lEENS9_INSA_ISC_KSD_Lm3ESE_lEESI_SK_Lm4ESE_lEE
	.p2align	8
	.type	_ZN2at6native12_GLOBAL__N_137upsample_bicubic2d_backward_out_frameIN3c104HalfEfEEviT0_S5_bN5torch10headeronly6detail27GenericPackedTensorAccessorINS8_14TensorAccessorINS3_8ArrayRefIlEET_Lm3ENS7_16DefaultPtrTraitsElEENS_6detail16IndexBoundsCheckILm4ElEESD_Lm4ESE_lEENS9_INSA_ISC_KSD_Lm3ESE_lEESI_SK_Lm4ESE_lEE,@function
_ZN2at6native12_GLOBAL__N_137upsample_bicubic2d_backward_out_frameIN3c104HalfEfEEviT0_S5_bN5torch10headeronly6detail27GenericPackedTensorAccessorINS8_14TensorAccessorINS3_8ArrayRefIlEET_Lm3ENS7_16DefaultPtrTraitsElEENS_6detail16IndexBoundsCheckILm4ElEESD_Lm4ESE_lEENS9_INSA_ISC_KSD_Lm3ESE_lEESI_SK_Lm4ESE_lEE: ; @_ZN2at6native12_GLOBAL__N_137upsample_bicubic2d_backward_out_frameIN3c104HalfEfEEviT0_S5_bN5torch10headeronly6detail27GenericPackedTensorAccessorINS8_14TensorAccessorINS3_8ArrayRefIlEET_Lm3ENS7_16DefaultPtrTraitsElEENS_6detail16IndexBoundsCheckILm4ElEESD_Lm4ESE_lEENS9_INSA_ISC_KSD_Lm3ESE_lEESI_SK_Lm4ESE_lEE
; %bb.0:
	s_clause 0x1
	s_load_b32 s2, s[0:1], 0xac
	s_load_b128 s[28:31], s[0:1], 0x0
	s_bfe_u32 s3, ttmp6, 0x4000c
	s_and_b32 s4, ttmp6, 15
	s_add_co_i32 s3, s3, 1
	s_getreg_b32 s5, hwreg(HW_REG_IB_STS2, 6, 4)
	s_mul_i32 s3, ttmp9, s3
	s_delay_alu instid0(SALU_CYCLE_1) | instskip(SKIP_4) | instid1(SALU_CYCLE_1)
	s_add_co_i32 s4, s4, s3
	s_wait_kmcnt 0x0
	s_and_b32 s2, s2, 0xffff
	s_cmp_eq_u32 s5, 0
	s_cselect_b32 s3, ttmp9, s4
	v_mad_u32 v1, s3, s2, v0
	s_mov_b32 s2, exec_lo
	s_delay_alu instid0(VALU_DEP_1)
	v_cmpx_gt_i32_e64 s28, v1
	s_cbranch_execz .LBB10_41
; %bb.1:
	s_load_b128 s[12:15], s[0:1], 0x70
	s_wait_kmcnt 0x0
	s_abs_i32 s2, s14
	s_delay_alu instid0(SALU_CYCLE_1) | instskip(SKIP_1) | instid1(SALU_CYCLE_2)
	s_cvt_f32_u32 s3, s2
	s_sub_co_i32 s4, 0, s2
	v_rcp_iflag_f32_e32 v0, s3
	v_nop
	s_delay_alu instid0(TRANS32_DEP_1) | instskip(SKIP_2) | instid1(VALU_DEP_1)
	v_readfirstlane_b32 s3, v0
	v_sub_nc_u32_e32 v0, 0, v1
	s_mul_f32 s3, s3, 0x4f7ffffe
	v_max_i32_e32 v0, v1, v0
	s_delay_alu instid0(SALU_CYCLE_2) | instskip(NEXT) | instid1(SALU_CYCLE_3)
	s_cvt_u32_f32 s3, s3
	s_mul_i32 s4, s4, s3
	s_delay_alu instid0(SALU_CYCLE_1) | instskip(NEXT) | instid1(SALU_CYCLE_1)
	s_mul_hi_u32 s4, s3, s4
	s_add_co_i32 s3, s3, s4
	s_load_b256 s[4:11], s[0:1], 0x18
	v_mul_hi_u32 v2, v0, s3
	s_delay_alu instid0(VALU_DEP_1) | instskip(SKIP_2) | instid1(VALU_DEP_1)
	v_mul_lo_u32 v3, v2, s2
	s_wait_kmcnt 0x0
	s_cmp_lg_u32 s8, s12
	v_dual_sub_nc_u32 v0, v0, v3 :: v_dual_add_nc_u32 v3, 1, v2
	s_delay_alu instid0(VALU_DEP_1) | instskip(NEXT) | instid1(VALU_DEP_2)
	v_cmp_le_u32_e32 vcc_lo, s2, v0
	v_dual_cndmask_b32 v2, v2, v3, vcc_lo :: v_dual_bitop2_b32 v3, s14, v1 bitop3:0x14
	v_subrev_nc_u32_e32 v4, s2, v0
	s_delay_alu instid0(VALU_DEP_1) | instskip(NEXT) | instid1(VALU_DEP_1)
	v_dual_cndmask_b32 v0, v0, v4, vcc_lo :: v_dual_add_nc_u32 v4, 1, v2
	v_cmp_le_u32_e32 vcc_lo, s2, v0
	s_delay_alu instid0(VALU_DEP_4) | instskip(SKIP_4) | instid1(SALU_CYCLE_1)
	v_ashrrev_i32_e32 v3, 31, v3
	s_cselect_b32 s2, -1, 0
	s_cmp_lg_u32 s10, s14
	v_cndmask_b32_e32 v0, v2, v4, vcc_lo
	s_cselect_b32 s3, -1, 0
	s_or_b32 s2, s3, s2
	s_delay_alu instid0(VALU_DEP_1) | instskip(SKIP_2) | instid1(VALU_DEP_1)
	v_xor_b32_e32 v0, v0, v3
	s_and_b32 vcc_lo, exec_lo, s2
	s_mov_b32 s2, -1
	v_sub_nc_u32_e32 v0, v0, v3
	s_delay_alu instid0(VALU_DEP_1) | instskip(NEXT) | instid1(VALU_DEP_1)
	v_mul_lo_u32 v2, v0, s14
	v_sub_nc_u32_e32 v2, v1, v2
	s_cbranch_vccz .LBB10_35
; %bb.2:
	s_cmp_lt_i32 s4, 1
	s_cbranch_scc1 .LBB10_34
; %bb.3:
	s_delay_alu instid0(VALU_DEP_1)
	v_cvt_f32_i32_e32 v1, v2
	s_bitcmp1_b32 s31, 0
	v_cvt_f32_i32_e32 v4, v0
	s_cselect_b32 vcc_lo, -1, 0
	s_clause 0x1
	s_load_b256 s[20:27], s[0:1], 0x38
	s_load_b64 s[2:3], s[0:1], 0x58
	v_dual_add_f32 v3, 0.5, v1 :: v_dual_mul_f32 v1, s30, v1
	s_load_b256 s[12:19], s[0:1], 0x80
	s_cmp_gt_i32 s6, 0
	s_mov_b32 s7, 0xbf400000
	s_delay_alu instid0(VALU_DEP_1)
	v_fma_f32 v3, s30, v3, -0.5
	s_cselect_b32 s5, -1, 0
	s_add_co_i32 s10, s10, -1
	s_mov_b32 s9, 0x3fa00000
	v_mov_b64_e32 v[26:27], 0x3f80000040400000
	v_dual_cndmask_b32 v3, v3, v1, vcc_lo :: v_dual_add_f32 v1, 0.5, v4
	v_mul_f32_e32 v4, s29, v4
	v_mov_b64_e32 v[30:31], 0x404000003f800000
	s_delay_alu instid0(VALU_DEP_3) | instskip(NEXT) | instid1(VALU_DEP_4)
	v_floor_f32_e32 v5, v3
	v_fma_f32 v6, s29, v1, -0.5
	s_delay_alu instid0(VALU_DEP_2) | instskip(SKIP_1) | instid1(VALU_DEP_3)
	v_cvt_i32_f32_e32 v10, v5
	v_dual_ashrrev_i32 v1, 31, v0 :: v_dual_mov_b32 v5, 0
	v_cndmask_b32_e32 v12, v6, v4, vcc_lo
	s_delay_alu instid0(VALU_DEP_3)
	v_cvt_f32_i32_e32 v4, v10
	v_dual_add_nc_u32 v6, -1, v10 :: v_dual_add_nc_u32 v11, 1, v10
	v_add_nc_u32_e32 v17, 2, v10
	s_wait_kmcnt 0x0
	v_mul_u64_e32 v[14:15], s[16:17], v[0:1]
	v_sub_f32_e32 v16, v3, v4
	v_floor_f32_e32 v7, v12
	v_minmax_i32 v4, v6, s10, 0
	s_delay_alu instid0(VALU_DEP_3) | instskip(NEXT) | instid1(VALU_DEP_3)
	v_dual_ashrrev_i32 v3, 31, v2 :: v_dual_add_f32 v1, 1.0, v16
	v_cvt_i32_f32_e32 v34, v7
	s_delay_alu instid0(VALU_DEP_3) | instskip(SKIP_1) | instid1(VALU_DEP_4)
	v_mul_u64_e32 v[6:7], s[26:27], v[4:5]
	v_minmax_i32 v4, v10, s10, 0
	v_mul_u64_e32 v[18:19], s[18:19], v[2:3]
	v_dual_fmaak_f32 v13, s7, v1, 0x40700000 :: v_dual_sub_f32 v28, 1.0, v16
	v_cvt_f32_i32_e32 v3, v34
	s_delay_alu instid0(VALU_DEP_4) | instskip(SKIP_4) | instid1(VALU_DEP_4)
	v_mul_u64_e32 v[8:9], s[26:27], v[4:5]
	v_minmax_i32 v4, v11, s10, 0
	v_fmaak_f32 v20, s9, v16, 0xc0100000
	v_fmaak_f32 v13, v1, v13, 0xc0c00000
	v_add_f32_e32 v29, 1.0, v28
	v_mul_u64_e32 v[10:11], s[26:27], v[4:5]
	v_minmax_i32 v4, v17, s10, 0
	v_sub_f32_e32 v17, v12, v3
	v_mul_f32_e32 v3, v16, v20
	s_load_b64 s[10:11], s[0:1], 0x10
	s_delay_alu instid0(VALU_DEP_2) | instskip(NEXT) | instid1(VALU_DEP_2)
	v_dual_sub_f32 v22, 1.0, v17 :: v_dual_add_f32 v20, 1.0, v17
	v_fma_f32 v3, v16, v3, 1.0
	s_delay_alu instid0(VALU_DEP_2) | instskip(SKIP_4) | instid1(VALU_DEP_1)
	v_fmaak_f32 v23, s9, v22, 0xc0100000
	v_fmaak_f32 v1, v1, v13, 0x40400000
	v_mul_u64_e32 v[12:13], s[26:27], v[4:5]
	v_fmaak_f32 v4, s9, v28, 0xc0100000
	v_dual_fmaak_f32 v21, s7, v29, 0x40700000 :: v_dual_fmaak_f32 v16, s7, v20, 0x40700000
	v_dual_mul_f32 v4, v28, v4 :: v_dual_fmaak_f32 v35, v29, v21, 0xc0c00000
	s_delay_alu instid0(VALU_DEP_2) | instskip(SKIP_2) | instid1(VALU_DEP_4)
	v_fmaak_f32 v16, v20, v16, 0xc0c00000
	v_fmaak_f32 v21, s9, v17, 0xc0100000
	v_dual_add_f32 v25, 1.0, v22 :: v_dual_mul_f32 v24, v22, v23
	v_fma_f32 v28, v28, v4, 1.0
	v_fmaak_f32 v29, v29, v35, 0x40400000
	s_delay_alu instid0(VALU_DEP_4) | instskip(NEXT) | instid1(VALU_DEP_4)
	v_mul_f32_e32 v21, v17, v21
	v_fmaak_f32 v32, s7, v25, 0x40700000
	s_mov_b32 s9, 0
	s_add_co_i32 s7, s8, -1
	s_mov_b32 s16, s9
	s_delay_alu instid0(VALU_DEP_1) | instskip(SKIP_2) | instid1(VALU_DEP_3)
	v_fmaak_f32 v23, v25, v32, 0xc0c00000
	v_lshl_add_u64 v[32:33], v[14:15], 1, s[2:3]
	v_pk_fma_f32 v[14:15], v[20:21], v[16:17], v[26:27]
	v_pk_fma_f32 v[16:17], v[22:23], v[24:25], v[30:31]
	s_delay_alu instid0(VALU_DEP_3)
	v_lshl_add_u64 v[18:19], v[18:19], 1, v[32:33]
	v_add_nc_u32_e32 v30, -1, v34
	s_branch .LBB10_5
.LBB10_4:                               ;   in Loop: Header=BB10_5 Depth=1
	s_add_co_i32 s16, s16, 1
	s_delay_alu instid0(SALU_CYCLE_1)
	s_cmp_eq_u32 s16, s4
	s_cbranch_scc1 .LBB10_34
.LBB10_5:                               ; =>This Loop Header: Depth=1
                                        ;     Child Loop BB10_8 Depth 2
                                        ;       Child Loop BB10_10 Depth 3
                                        ;         Child Loop BB10_12 Depth 4
                                        ;         Child Loop BB10_18 Depth 4
	;; [unrolled: 1-line block ×4, first 2 shown]
	s_and_not1_b32 vcc_lo, exec_lo, s5
	s_cbranch_vccnz .LBB10_4
; %bb.6:                                ;   in Loop: Header=BB10_5 Depth=1
	s_mov_b32 s17, s9
	s_mov_b32 s8, 0
	s_mul_u64 s[2:3], s[12:13], s[16:17]
	s_mul_u64 s[18:19], s[20:21], s[16:17]
	v_lshl_add_u64 v[20:21], s[2:3], 1, v[18:19]
	s_lshl_b64 s[2:3], s[18:19], 1
	s_wait_kmcnt 0x0
	s_add_nc_u64 s[18:19], s[10:11], s[2:3]
	s_branch .LBB10_8
.LBB10_7:                               ;   in Loop: Header=BB10_8 Depth=2
	s_add_co_i32 s8, s8, 1
	s_delay_alu instid0(SALU_CYCLE_1)
	s_cmp_eq_u32 s8, s6
	s_cbranch_scc1 .LBB10_4
.LBB10_8:                               ;   Parent Loop BB10_5 Depth=1
                                        ; =>  This Loop Header: Depth=2
                                        ;       Child Loop BB10_10 Depth 3
                                        ;         Child Loop BB10_12 Depth 4
                                        ;         Child Loop BB10_18 Depth 4
	;; [unrolled: 1-line block ×4, first 2 shown]
	s_mul_u64 s[2:3], s[14:15], s[8:9]
	s_mov_b32 s17, 0
	v_lshl_add_u64 v[22:23], s[2:3], 1, v[20:21]
	s_mul_u64 s[2:3], s[22:23], s[8:9]
	s_delay_alu instid0(SALU_CYCLE_1) | instskip(NEXT) | instid1(SALU_CYCLE_1)
	s_lshl_b64 s[2:3], s[2:3], 1
	s_add_nc_u64 s[26:27], s[18:19], s[2:3]
	global_load_u16 v4, v[22:23], off
	s_wait_loadcnt 0x0
	v_cvt_f32_f16_e32 v31, v4
	s_branch .LBB10_10
.LBB10_9:                               ;   in Loop: Header=BB10_10 Depth=3
	s_or_b32 exec_lo, exec_lo, s28
	s_add_co_i32 s17, s17, 1
	s_delay_alu instid0(SALU_CYCLE_1)
	s_cmp_eq_u32 s17, 4
	s_cbranch_scc1 .LBB10_7
.LBB10_10:                              ;   Parent Loop BB10_5 Depth=1
                                        ;     Parent Loop BB10_8 Depth=2
                                        ; =>    This Loop Header: Depth=3
                                        ;         Child Loop BB10_12 Depth 4
                                        ;         Child Loop BB10_18 Depth 4
	;; [unrolled: 1-line block ×4, first 2 shown]
	s_cmp_eq_u32 s17, 1
	s_mov_b32 s28, 0
	s_cselect_b32 vcc_lo, -1, 0
	v_add_nc_u32_e32 v4, s17, v30
	s_cmp_eq_u32 s17, 2
	s_delay_alu instid0(VALU_DEP_1) | instskip(NEXT) | instid1(VALU_DEP_1)
	v_minmax_i32 v4, v4, s7, 0
	v_mul_u64_e32 v[22:23], s[24:25], v[4:5]
	s_delay_alu instid0(VALU_DEP_1) | instskip(NEXT) | instid1(VALU_DEP_1)
	v_lshl_add_u64 v[22:23], v[22:23], 1, s[26:27]
	v_lshl_add_u64 v[24:25], v[6:7], 1, v[22:23]
	s_delay_alu instid0(VALU_DEP_1) | instskip(NEXT) | instid1(VALU_DEP_1)
	v_and_b32_e32 v4, 2, v24
	v_sub_nc_u64_e32 v[26:27], 0, v[4:5]
	s_delay_alu instid0(VALU_DEP_1) | instskip(SKIP_3) | instid1(VALU_DEP_1)
	v_add_nc_u64_e32 v[24:25], v[24:25], v[26:27]
	v_cndmask_b32_e32 v26, v14, v15, vcc_lo
	s_cselect_b32 vcc_lo, -1, 0
	s_cmp_eq_u32 s17, 3
	v_cndmask_b32_e32 v26, v26, v16, vcc_lo
	global_load_b32 v27, v[24:25], off
	s_cselect_b32 vcc_lo, -1, 0
	v_cndmask_b32_e32 v26, v26, v17, vcc_lo
	v_cmp_ne_u32_e64 s2, 0, v4
	v_cmp_eq_u64_e32 vcc_lo, 0, v[4:5]
	s_delay_alu instid0(VALU_DEP_3) | instskip(NEXT) | instid1(VALU_DEP_1)
	v_mul_f32_e32 v32, v26, v31
	v_fma_mixlo_f16 v33, v32, v1, 0
	s_branch .LBB10_12
.LBB10_11:                              ;   in Loop: Header=BB10_12 Depth=4
	s_or_b32 exec_lo, exec_lo, s3
	global_atomic_cmpswap_b32 v4, v[24:25], v[26:27], off th:TH_ATOMIC_RETURN scope:SCOPE_DEV
	s_wait_loadcnt 0x0
	v_cmp_eq_u32_e64 s3, v27, v4
	v_mov_b32_e32 v27, v4
	s_or_b32 s28, s3, s28
	s_delay_alu instid0(SALU_CYCLE_1)
	s_and_not1_b32 exec_lo, exec_lo, s28
	s_cbranch_execz .LBB10_16
.LBB10_12:                              ;   Parent Loop BB10_5 Depth=1
                                        ;     Parent Loop BB10_8 Depth=2
                                        ;       Parent Loop BB10_10 Depth=3
                                        ; =>      This Inner Loop Header: Depth=4
	s_wait_loadcnt 0x0
	v_lshrrev_b32_e32 v4, 16, v27
	s_delay_alu instid0(VALU_DEP_1) | instskip(NEXT) | instid1(VALU_DEP_1)
	v_cndmask_b32_e32 v4, v4, v27, vcc_lo
	v_add_f16_e32 v4, v33, v4
	s_delay_alu instid0(VALU_DEP_1) | instskip(SKIP_1) | instid1(SALU_CYCLE_1)
	v_and_b32_e32 v4, 0xffff, v4
	s_and_saveexec_b32 s3, s2
	s_xor_b32 s3, exec_lo, s3
; %bb.13:                               ;   in Loop: Header=BB10_12 Depth=4
	v_and_b32_e32 v26, 0xffff, v27
	s_delay_alu instid0(VALU_DEP_1)
	v_lshl_or_b32 v26, v4, 16, v26
                                        ; implicit-def: $vgpr4
; %bb.14:                               ;   in Loop: Header=BB10_12 Depth=4
	s_and_not1_saveexec_b32 s3, s3
	s_cbranch_execz .LBB10_11
; %bb.15:                               ;   in Loop: Header=BB10_12 Depth=4
	v_and_or_b32 v26, 0xffff0000, v27, v4
	s_branch .LBB10_11
.LBB10_16:                              ;   in Loop: Header=BB10_10 Depth=3
	s_or_b32 exec_lo, exec_lo, s28
	v_lshl_add_u64 v[24:25], v[8:9], 1, v[22:23]
	v_fma_mixlo_f16 v33, v32, v3, 0
	s_mov_b32 s28, 0
	s_delay_alu instid0(VALU_DEP_2) | instskip(NEXT) | instid1(VALU_DEP_1)
	v_and_b32_e32 v4, 2, v24
	v_sub_nc_u64_e32 v[26:27], 0, v[4:5]
	v_cmp_ne_u32_e64 s2, 0, v4
	v_cmp_eq_u64_e32 vcc_lo, 0, v[4:5]
	s_delay_alu instid0(VALU_DEP_3)
	v_add_nc_u64_e32 v[24:25], v[24:25], v[26:27]
	global_load_b32 v27, v[24:25], off
	s_branch .LBB10_18
.LBB10_17:                              ;   in Loop: Header=BB10_18 Depth=4
	s_or_b32 exec_lo, exec_lo, s3
	global_atomic_cmpswap_b32 v4, v[24:25], v[26:27], off th:TH_ATOMIC_RETURN scope:SCOPE_DEV
	s_wait_loadcnt 0x0
	v_cmp_eq_u32_e64 s3, v27, v4
	v_mov_b32_e32 v27, v4
	s_or_b32 s28, s3, s28
	s_delay_alu instid0(SALU_CYCLE_1)
	s_and_not1_b32 exec_lo, exec_lo, s28
	s_cbranch_execz .LBB10_22
.LBB10_18:                              ;   Parent Loop BB10_5 Depth=1
                                        ;     Parent Loop BB10_8 Depth=2
                                        ;       Parent Loop BB10_10 Depth=3
                                        ; =>      This Inner Loop Header: Depth=4
	s_wait_loadcnt 0x0
	v_lshrrev_b32_e32 v4, 16, v27
	s_delay_alu instid0(VALU_DEP_1) | instskip(NEXT) | instid1(VALU_DEP_1)
	v_cndmask_b32_e32 v4, v4, v27, vcc_lo
	v_add_f16_e32 v4, v33, v4
	s_delay_alu instid0(VALU_DEP_1) | instskip(SKIP_1) | instid1(SALU_CYCLE_1)
	v_and_b32_e32 v4, 0xffff, v4
	s_and_saveexec_b32 s3, s2
	s_xor_b32 s3, exec_lo, s3
; %bb.19:                               ;   in Loop: Header=BB10_18 Depth=4
	v_and_b32_e32 v26, 0xffff, v27
	s_delay_alu instid0(VALU_DEP_1)
	v_lshl_or_b32 v26, v4, 16, v26
                                        ; implicit-def: $vgpr4
; %bb.20:                               ;   in Loop: Header=BB10_18 Depth=4
	s_and_not1_saveexec_b32 s3, s3
	s_cbranch_execz .LBB10_17
; %bb.21:                               ;   in Loop: Header=BB10_18 Depth=4
	v_and_or_b32 v26, 0xffff0000, v27, v4
	s_branch .LBB10_17
.LBB10_22:                              ;   in Loop: Header=BB10_10 Depth=3
	s_or_b32 exec_lo, exec_lo, s28
	v_lshl_add_u64 v[24:25], v[10:11], 1, v[22:23]
	v_fma_mixlo_f16 v33, v32, v28, 0
	s_mov_b32 s28, 0
	s_delay_alu instid0(VALU_DEP_2) | instskip(NEXT) | instid1(VALU_DEP_1)
	v_and_b32_e32 v4, 2, v24
	v_sub_nc_u64_e32 v[26:27], 0, v[4:5]
	v_cmp_ne_u32_e64 s2, 0, v4
	v_cmp_eq_u64_e32 vcc_lo, 0, v[4:5]
	s_delay_alu instid0(VALU_DEP_3)
	v_add_nc_u64_e32 v[24:25], v[24:25], v[26:27]
	global_load_b32 v27, v[24:25], off
	;; [unrolled: 48-line block ×3, first 2 shown]
	s_branch .LBB10_30
.LBB10_29:                              ;   in Loop: Header=BB10_30 Depth=4
	s_or_b32 exec_lo, exec_lo, s3
	global_atomic_cmpswap_b32 v4, v[22:23], v[24:25], off th:TH_ATOMIC_RETURN scope:SCOPE_DEV
	s_wait_loadcnt 0x0
	v_cmp_eq_u32_e64 s3, v25, v4
	v_mov_b32_e32 v25, v4
	s_or_b32 s28, s3, s28
	s_delay_alu instid0(SALU_CYCLE_1)
	s_and_not1_b32 exec_lo, exec_lo, s28
	s_cbranch_execz .LBB10_9
.LBB10_30:                              ;   Parent Loop BB10_5 Depth=1
                                        ;     Parent Loop BB10_8 Depth=2
                                        ;       Parent Loop BB10_10 Depth=3
                                        ; =>      This Inner Loop Header: Depth=4
	s_wait_loadcnt 0x0
	v_lshrrev_b32_e32 v4, 16, v25
	s_delay_alu instid0(VALU_DEP_1) | instskip(NEXT) | instid1(VALU_DEP_1)
	v_cndmask_b32_e32 v4, v4, v25, vcc_lo
	v_add_f16_e32 v4, v26, v4
	s_delay_alu instid0(VALU_DEP_1) | instskip(SKIP_1) | instid1(SALU_CYCLE_1)
	v_and_b32_e32 v4, 0xffff, v4
	s_and_saveexec_b32 s3, s2
	s_xor_b32 s3, exec_lo, s3
; %bb.31:                               ;   in Loop: Header=BB10_30 Depth=4
	v_and_b32_e32 v24, 0xffff, v25
	s_delay_alu instid0(VALU_DEP_1)
	v_lshl_or_b32 v24, v4, 16, v24
                                        ; implicit-def: $vgpr4
; %bb.32:                               ;   in Loop: Header=BB10_30 Depth=4
	s_and_not1_saveexec_b32 s3, s3
	s_cbranch_execz .LBB10_29
; %bb.33:                               ;   in Loop: Header=BB10_30 Depth=4
	v_and_or_b32 v24, 0xffff0000, v25, v4
	s_branch .LBB10_29
.LBB10_34:
	s_mov_b32 s2, 0
.LBB10_35:
	s_delay_alu instid0(SALU_CYCLE_1)
	s_and_not1_b32 vcc_lo, exec_lo, s2
	s_cbranch_vccnz .LBB10_41
; %bb.36:
	s_cmp_lt_i32 s4, 1
	s_cbranch_scc1 .LBB10_41
; %bb.37:
	s_wait_kmcnt 0x0
	s_clause 0x1
	s_load_b256 s[8:15], s[0:1], 0x80
	s_load_b256 s[16:23], s[0:1], 0x38
	v_dual_ashrrev_i32 v1, 31, v0 :: v_dual_ashrrev_i32 v3, 31, v2
	s_cmp_gt_i32 s6, 0
	s_mov_b32 s5, 0
	s_cselect_b32 s7, -1, 0
	s_wait_kmcnt 0x0
	v_mul_u64_e32 v[4:5], s[12:13], v[0:1]
	v_mul_u64_e32 v[0:1], s[20:21], v[0:1]
	;; [unrolled: 1-line block ×4, first 2 shown]
	s_clause 0x1
	s_load_b64 s[2:3], s[0:1], 0x58
	s_load_b64 s[12:13], s[0:1], 0x10
	s_wait_xcnt 0x0
	s_lshl_b64 s[0:1], s[16:17], 1
	s_lshl_b64 s[8:9], s[8:9], 1
	;; [unrolled: 1-line block ×3, first 2 shown]
	s_wait_kmcnt 0x0
	s_delay_alu instid0(VALU_DEP_4) | instskip(NEXT) | instid1(VALU_DEP_4)
	v_lshl_add_u64 v[4:5], v[4:5], 1, s[2:3]
	v_lshl_add_u64 v[8:9], v[0:1], 1, s[12:13]
	s_lshl_b64 s[2:3], s[18:19], 1
	s_delay_alu instid0(VALU_DEP_2) | instskip(NEXT) | instid1(VALU_DEP_2)
	v_lshl_add_u64 v[0:1], v[6:7], 1, v[4:5]
	v_lshl_add_u64 v[2:3], v[2:3], 1, v[8:9]
	s_branch .LBB10_39
.LBB10_38:                              ;   in Loop: Header=BB10_39 Depth=1
	v_add_nc_u64_e32 v[2:3], s[0:1], v[2:3]
	v_add_nc_u64_e32 v[0:1], s[8:9], v[0:1]
	s_add_co_i32 s5, s5, 1
	s_delay_alu instid0(SALU_CYCLE_1)
	s_cmp_eq_u32 s5, s4
	s_cbranch_scc1 .LBB10_41
.LBB10_39:                              ; =>This Loop Header: Depth=1
                                        ;     Child Loop BB10_40 Depth 2
	s_delay_alu instid0(VALU_DEP_1) | instskip(NEXT) | instid1(VALU_DEP_2)
	v_mov_b64_e32 v[4:5], v[0:1]
	v_mov_b64_e32 v[6:7], v[2:3]
	s_and_not1_b32 vcc_lo, exec_lo, s7
	s_mov_b32 s12, s6
	s_cbranch_vccnz .LBB10_38
.LBB10_40:                              ;   Parent Loop BB10_39 Depth=1
                                        ; =>  This Inner Loop Header: Depth=2
	global_load_u16 v8, v[4:5], off
	s_wait_xcnt 0x0
	v_add_nc_u64_e32 v[4:5], s[10:11], v[4:5]
	s_add_co_i32 s12, s12, -1
	s_delay_alu instid0(SALU_CYCLE_1)
	s_cmp_eq_u32 s12, 0
	s_wait_loadcnt 0x0
	global_store_b16 v[6:7], v8, off
	s_wait_xcnt 0x0
	v_add_nc_u64_e32 v[6:7], s[2:3], v[6:7]
	s_cbranch_scc0 .LBB10_40
	s_branch .LBB10_38
.LBB10_41:
	s_endpgm
	.section	.rodata,"a",@progbits
	.p2align	6, 0x0
	.amdhsa_kernel _ZN2at6native12_GLOBAL__N_137upsample_bicubic2d_backward_out_frameIN3c104HalfEfEEviT0_S5_bN5torch10headeronly6detail27GenericPackedTensorAccessorINS8_14TensorAccessorINS3_8ArrayRefIlEET_Lm3ENS7_16DefaultPtrTraitsElEENS_6detail16IndexBoundsCheckILm4ElEESD_Lm4ESE_lEENS9_INSA_ISC_KSD_Lm3ESE_lEESI_SK_Lm4ESE_lEE
		.amdhsa_group_segment_fixed_size 0
		.amdhsa_private_segment_fixed_size 0
		.amdhsa_kernarg_size 416
		.amdhsa_user_sgpr_count 2
		.amdhsa_user_sgpr_dispatch_ptr 0
		.amdhsa_user_sgpr_queue_ptr 0
		.amdhsa_user_sgpr_kernarg_segment_ptr 1
		.amdhsa_user_sgpr_dispatch_id 0
		.amdhsa_user_sgpr_kernarg_preload_length 0
		.amdhsa_user_sgpr_kernarg_preload_offset 0
		.amdhsa_user_sgpr_private_segment_size 0
		.amdhsa_wavefront_size32 1
		.amdhsa_uses_dynamic_stack 0
		.amdhsa_enable_private_segment 0
		.amdhsa_system_sgpr_workgroup_id_x 1
		.amdhsa_system_sgpr_workgroup_id_y 0
		.amdhsa_system_sgpr_workgroup_id_z 0
		.amdhsa_system_sgpr_workgroup_info 0
		.amdhsa_system_vgpr_workitem_id 0
		.amdhsa_next_free_vgpr 36
		.amdhsa_next_free_sgpr 32
		.amdhsa_named_barrier_count 0
		.amdhsa_reserve_vcc 1
		.amdhsa_float_round_mode_32 0
		.amdhsa_float_round_mode_16_64 0
		.amdhsa_float_denorm_mode_32 3
		.amdhsa_float_denorm_mode_16_64 3
		.amdhsa_fp16_overflow 0
		.amdhsa_memory_ordered 1
		.amdhsa_forward_progress 1
		.amdhsa_inst_pref_size 18
		.amdhsa_round_robin_scheduling 0
		.amdhsa_exception_fp_ieee_invalid_op 0
		.amdhsa_exception_fp_denorm_src 0
		.amdhsa_exception_fp_ieee_div_zero 0
		.amdhsa_exception_fp_ieee_overflow 0
		.amdhsa_exception_fp_ieee_underflow 0
		.amdhsa_exception_fp_ieee_inexact 0
		.amdhsa_exception_int_div_zero 0
	.end_amdhsa_kernel
	.section	.text._ZN2at6native12_GLOBAL__N_137upsample_bicubic2d_backward_out_frameIN3c104HalfEfEEviT0_S5_bN5torch10headeronly6detail27GenericPackedTensorAccessorINS8_14TensorAccessorINS3_8ArrayRefIlEET_Lm3ENS7_16DefaultPtrTraitsElEENS_6detail16IndexBoundsCheckILm4ElEESD_Lm4ESE_lEENS9_INSA_ISC_KSD_Lm3ESE_lEESI_SK_Lm4ESE_lEE,"axG",@progbits,_ZN2at6native12_GLOBAL__N_137upsample_bicubic2d_backward_out_frameIN3c104HalfEfEEviT0_S5_bN5torch10headeronly6detail27GenericPackedTensorAccessorINS8_14TensorAccessorINS3_8ArrayRefIlEET_Lm3ENS7_16DefaultPtrTraitsElEENS_6detail16IndexBoundsCheckILm4ElEESD_Lm4ESE_lEENS9_INSA_ISC_KSD_Lm3ESE_lEESI_SK_Lm4ESE_lEE,comdat
.Lfunc_end10:
	.size	_ZN2at6native12_GLOBAL__N_137upsample_bicubic2d_backward_out_frameIN3c104HalfEfEEviT0_S5_bN5torch10headeronly6detail27GenericPackedTensorAccessorINS8_14TensorAccessorINS3_8ArrayRefIlEET_Lm3ENS7_16DefaultPtrTraitsElEENS_6detail16IndexBoundsCheckILm4ElEESD_Lm4ESE_lEENS9_INSA_ISC_KSD_Lm3ESE_lEESI_SK_Lm4ESE_lEE, .Lfunc_end10-_ZN2at6native12_GLOBAL__N_137upsample_bicubic2d_backward_out_frameIN3c104HalfEfEEviT0_S5_bN5torch10headeronly6detail27GenericPackedTensorAccessorINS8_14TensorAccessorINS3_8ArrayRefIlEET_Lm3ENS7_16DefaultPtrTraitsElEENS_6detail16IndexBoundsCheckILm4ElEESD_Lm4ESE_lEENS9_INSA_ISC_KSD_Lm3ESE_lEESI_SK_Lm4ESE_lEE
                                        ; -- End function
	.set _ZN2at6native12_GLOBAL__N_137upsample_bicubic2d_backward_out_frameIN3c104HalfEfEEviT0_S5_bN5torch10headeronly6detail27GenericPackedTensorAccessorINS8_14TensorAccessorINS3_8ArrayRefIlEET_Lm3ENS7_16DefaultPtrTraitsElEENS_6detail16IndexBoundsCheckILm4ElEESD_Lm4ESE_lEENS9_INSA_ISC_KSD_Lm3ESE_lEESI_SK_Lm4ESE_lEE.num_vgpr, 36
	.set _ZN2at6native12_GLOBAL__N_137upsample_bicubic2d_backward_out_frameIN3c104HalfEfEEviT0_S5_bN5torch10headeronly6detail27GenericPackedTensorAccessorINS8_14TensorAccessorINS3_8ArrayRefIlEET_Lm3ENS7_16DefaultPtrTraitsElEENS_6detail16IndexBoundsCheckILm4ElEESD_Lm4ESE_lEENS9_INSA_ISC_KSD_Lm3ESE_lEESI_SK_Lm4ESE_lEE.num_agpr, 0
	.set _ZN2at6native12_GLOBAL__N_137upsample_bicubic2d_backward_out_frameIN3c104HalfEfEEviT0_S5_bN5torch10headeronly6detail27GenericPackedTensorAccessorINS8_14TensorAccessorINS3_8ArrayRefIlEET_Lm3ENS7_16DefaultPtrTraitsElEENS_6detail16IndexBoundsCheckILm4ElEESD_Lm4ESE_lEENS9_INSA_ISC_KSD_Lm3ESE_lEESI_SK_Lm4ESE_lEE.numbered_sgpr, 32
	.set _ZN2at6native12_GLOBAL__N_137upsample_bicubic2d_backward_out_frameIN3c104HalfEfEEviT0_S5_bN5torch10headeronly6detail27GenericPackedTensorAccessorINS8_14TensorAccessorINS3_8ArrayRefIlEET_Lm3ENS7_16DefaultPtrTraitsElEENS_6detail16IndexBoundsCheckILm4ElEESD_Lm4ESE_lEENS9_INSA_ISC_KSD_Lm3ESE_lEESI_SK_Lm4ESE_lEE.num_named_barrier, 0
	.set _ZN2at6native12_GLOBAL__N_137upsample_bicubic2d_backward_out_frameIN3c104HalfEfEEviT0_S5_bN5torch10headeronly6detail27GenericPackedTensorAccessorINS8_14TensorAccessorINS3_8ArrayRefIlEET_Lm3ENS7_16DefaultPtrTraitsElEENS_6detail16IndexBoundsCheckILm4ElEESD_Lm4ESE_lEENS9_INSA_ISC_KSD_Lm3ESE_lEESI_SK_Lm4ESE_lEE.private_seg_size, 0
	.set _ZN2at6native12_GLOBAL__N_137upsample_bicubic2d_backward_out_frameIN3c104HalfEfEEviT0_S5_bN5torch10headeronly6detail27GenericPackedTensorAccessorINS8_14TensorAccessorINS3_8ArrayRefIlEET_Lm3ENS7_16DefaultPtrTraitsElEENS_6detail16IndexBoundsCheckILm4ElEESD_Lm4ESE_lEENS9_INSA_ISC_KSD_Lm3ESE_lEESI_SK_Lm4ESE_lEE.uses_vcc, 1
	.set _ZN2at6native12_GLOBAL__N_137upsample_bicubic2d_backward_out_frameIN3c104HalfEfEEviT0_S5_bN5torch10headeronly6detail27GenericPackedTensorAccessorINS8_14TensorAccessorINS3_8ArrayRefIlEET_Lm3ENS7_16DefaultPtrTraitsElEENS_6detail16IndexBoundsCheckILm4ElEESD_Lm4ESE_lEENS9_INSA_ISC_KSD_Lm3ESE_lEESI_SK_Lm4ESE_lEE.uses_flat_scratch, 0
	.set _ZN2at6native12_GLOBAL__N_137upsample_bicubic2d_backward_out_frameIN3c104HalfEfEEviT0_S5_bN5torch10headeronly6detail27GenericPackedTensorAccessorINS8_14TensorAccessorINS3_8ArrayRefIlEET_Lm3ENS7_16DefaultPtrTraitsElEENS_6detail16IndexBoundsCheckILm4ElEESD_Lm4ESE_lEENS9_INSA_ISC_KSD_Lm3ESE_lEESI_SK_Lm4ESE_lEE.has_dyn_sized_stack, 0
	.set _ZN2at6native12_GLOBAL__N_137upsample_bicubic2d_backward_out_frameIN3c104HalfEfEEviT0_S5_bN5torch10headeronly6detail27GenericPackedTensorAccessorINS8_14TensorAccessorINS3_8ArrayRefIlEET_Lm3ENS7_16DefaultPtrTraitsElEENS_6detail16IndexBoundsCheckILm4ElEESD_Lm4ESE_lEENS9_INSA_ISC_KSD_Lm3ESE_lEESI_SK_Lm4ESE_lEE.has_recursion, 0
	.set _ZN2at6native12_GLOBAL__N_137upsample_bicubic2d_backward_out_frameIN3c104HalfEfEEviT0_S5_bN5torch10headeronly6detail27GenericPackedTensorAccessorINS8_14TensorAccessorINS3_8ArrayRefIlEET_Lm3ENS7_16DefaultPtrTraitsElEENS_6detail16IndexBoundsCheckILm4ElEESD_Lm4ESE_lEENS9_INSA_ISC_KSD_Lm3ESE_lEESI_SK_Lm4ESE_lEE.has_indirect_call, 0
	.section	.AMDGPU.csdata,"",@progbits
; Kernel info:
; codeLenInByte = 2248
; TotalNumSgprs: 34
; NumVgprs: 36
; ScratchSize: 0
; MemoryBound: 0
; FloatMode: 240
; IeeeMode: 1
; LDSByteSize: 0 bytes/workgroup (compile time only)
; SGPRBlocks: 0
; VGPRBlocks: 2
; NumSGPRsForWavesPerEU: 34
; NumVGPRsForWavesPerEU: 36
; NamedBarCnt: 0
; Occupancy: 16
; WaveLimiterHint : 1
; COMPUTE_PGM_RSRC2:SCRATCH_EN: 0
; COMPUTE_PGM_RSRC2:USER_SGPR: 2
; COMPUTE_PGM_RSRC2:TRAP_HANDLER: 0
; COMPUTE_PGM_RSRC2:TGID_X_EN: 1
; COMPUTE_PGM_RSRC2:TGID_Y_EN: 0
; COMPUTE_PGM_RSRC2:TGID_Z_EN: 0
; COMPUTE_PGM_RSRC2:TIDIG_COMP_CNT: 0
	.section	.text._ZN2at6native12_GLOBAL__N_137upsample_bicubic2d_backward_out_frameIN3c108BFloat16EfEEviT0_S5_bN5torch10headeronly6detail27GenericPackedTensorAccessorINS8_14TensorAccessorINS3_8ArrayRefIlEET_Lm3ENS7_16DefaultPtrTraitsElEENS_6detail16IndexBoundsCheckILm4ElEESD_Lm4ESE_lEENS9_INSA_ISC_KSD_Lm3ESE_lEESI_SK_Lm4ESE_lEE,"axG",@progbits,_ZN2at6native12_GLOBAL__N_137upsample_bicubic2d_backward_out_frameIN3c108BFloat16EfEEviT0_S5_bN5torch10headeronly6detail27GenericPackedTensorAccessorINS8_14TensorAccessorINS3_8ArrayRefIlEET_Lm3ENS7_16DefaultPtrTraitsElEENS_6detail16IndexBoundsCheckILm4ElEESD_Lm4ESE_lEENS9_INSA_ISC_KSD_Lm3ESE_lEESI_SK_Lm4ESE_lEE,comdat
	.globl	_ZN2at6native12_GLOBAL__N_137upsample_bicubic2d_backward_out_frameIN3c108BFloat16EfEEviT0_S5_bN5torch10headeronly6detail27GenericPackedTensorAccessorINS8_14TensorAccessorINS3_8ArrayRefIlEET_Lm3ENS7_16DefaultPtrTraitsElEENS_6detail16IndexBoundsCheckILm4ElEESD_Lm4ESE_lEENS9_INSA_ISC_KSD_Lm3ESE_lEESI_SK_Lm4ESE_lEE ; -- Begin function _ZN2at6native12_GLOBAL__N_137upsample_bicubic2d_backward_out_frameIN3c108BFloat16EfEEviT0_S5_bN5torch10headeronly6detail27GenericPackedTensorAccessorINS8_14TensorAccessorINS3_8ArrayRefIlEET_Lm3ENS7_16DefaultPtrTraitsElEENS_6detail16IndexBoundsCheckILm4ElEESD_Lm4ESE_lEENS9_INSA_ISC_KSD_Lm3ESE_lEESI_SK_Lm4ESE_lEE
	.p2align	8
	.type	_ZN2at6native12_GLOBAL__N_137upsample_bicubic2d_backward_out_frameIN3c108BFloat16EfEEviT0_S5_bN5torch10headeronly6detail27GenericPackedTensorAccessorINS8_14TensorAccessorINS3_8ArrayRefIlEET_Lm3ENS7_16DefaultPtrTraitsElEENS_6detail16IndexBoundsCheckILm4ElEESD_Lm4ESE_lEENS9_INSA_ISC_KSD_Lm3ESE_lEESI_SK_Lm4ESE_lEE,@function
_ZN2at6native12_GLOBAL__N_137upsample_bicubic2d_backward_out_frameIN3c108BFloat16EfEEviT0_S5_bN5torch10headeronly6detail27GenericPackedTensorAccessorINS8_14TensorAccessorINS3_8ArrayRefIlEET_Lm3ENS7_16DefaultPtrTraitsElEENS_6detail16IndexBoundsCheckILm4ElEESD_Lm4ESE_lEENS9_INSA_ISC_KSD_Lm3ESE_lEESI_SK_Lm4ESE_lEE: ; @_ZN2at6native12_GLOBAL__N_137upsample_bicubic2d_backward_out_frameIN3c108BFloat16EfEEviT0_S5_bN5torch10headeronly6detail27GenericPackedTensorAccessorINS8_14TensorAccessorINS3_8ArrayRefIlEET_Lm3ENS7_16DefaultPtrTraitsElEENS_6detail16IndexBoundsCheckILm4ElEESD_Lm4ESE_lEENS9_INSA_ISC_KSD_Lm3ESE_lEESI_SK_Lm4ESE_lEE
; %bb.0:
	s_clause 0x1
	s_load_b32 s2, s[0:1], 0xac
	s_load_b128 s[28:31], s[0:1], 0x0
	s_bfe_u32 s3, ttmp6, 0x4000c
	s_and_b32 s4, ttmp6, 15
	s_add_co_i32 s3, s3, 1
	s_getreg_b32 s5, hwreg(HW_REG_IB_STS2, 6, 4)
	s_mul_i32 s3, ttmp9, s3
	s_delay_alu instid0(SALU_CYCLE_1) | instskip(SKIP_4) | instid1(SALU_CYCLE_1)
	s_add_co_i32 s4, s4, s3
	s_wait_kmcnt 0x0
	s_and_b32 s2, s2, 0xffff
	s_cmp_eq_u32 s5, 0
	s_cselect_b32 s3, ttmp9, s4
	v_mad_u32 v1, s3, s2, v0
	s_mov_b32 s2, exec_lo
	s_delay_alu instid0(VALU_DEP_1)
	v_cmpx_gt_i32_e64 s28, v1
	s_cbranch_execz .LBB11_25
; %bb.1:
	s_load_b128 s[12:15], s[0:1], 0x70
	s_wait_kmcnt 0x0
	s_abs_i32 s2, s14
	s_delay_alu instid0(SALU_CYCLE_1) | instskip(SKIP_1) | instid1(SALU_CYCLE_2)
	s_cvt_f32_u32 s3, s2
	s_sub_co_i32 s4, 0, s2
	v_rcp_iflag_f32_e32 v0, s3
	v_nop
	s_delay_alu instid0(TRANS32_DEP_1) | instskip(SKIP_2) | instid1(VALU_DEP_1)
	v_readfirstlane_b32 s3, v0
	v_sub_nc_u32_e32 v0, 0, v1
	s_mul_f32 s3, s3, 0x4f7ffffe
	v_max_i32_e32 v0, v1, v0
	s_delay_alu instid0(SALU_CYCLE_2) | instskip(NEXT) | instid1(SALU_CYCLE_3)
	s_cvt_u32_f32 s3, s3
	s_mul_i32 s4, s4, s3
	s_delay_alu instid0(SALU_CYCLE_1) | instskip(NEXT) | instid1(SALU_CYCLE_1)
	s_mul_hi_u32 s4, s3, s4
	s_add_co_i32 s3, s3, s4
	s_load_b256 s[4:11], s[0:1], 0x18
	v_mul_hi_u32 v2, v0, s3
	s_delay_alu instid0(VALU_DEP_1) | instskip(SKIP_2) | instid1(VALU_DEP_1)
	v_mul_lo_u32 v3, v2, s2
	s_wait_kmcnt 0x0
	s_cmp_lg_u32 s8, s12
	v_dual_sub_nc_u32 v0, v0, v3 :: v_dual_add_nc_u32 v3, 1, v2
	s_delay_alu instid0(VALU_DEP_1) | instskip(NEXT) | instid1(VALU_DEP_2)
	v_cmp_le_u32_e32 vcc_lo, s2, v0
	v_dual_cndmask_b32 v2, v2, v3, vcc_lo :: v_dual_bitop2_b32 v3, s14, v1 bitop3:0x14
	v_subrev_nc_u32_e32 v4, s2, v0
	s_delay_alu instid0(VALU_DEP_1) | instskip(NEXT) | instid1(VALU_DEP_1)
	v_dual_cndmask_b32 v0, v0, v4, vcc_lo :: v_dual_add_nc_u32 v4, 1, v2
	v_cmp_le_u32_e32 vcc_lo, s2, v0
	s_delay_alu instid0(VALU_DEP_4) | instskip(SKIP_4) | instid1(SALU_CYCLE_1)
	v_ashrrev_i32_e32 v3, 31, v3
	s_cselect_b32 s2, -1, 0
	s_cmp_lg_u32 s10, s14
	v_cndmask_b32_e32 v0, v2, v4, vcc_lo
	s_cselect_b32 s3, -1, 0
	s_or_b32 s2, s3, s2
	s_delay_alu instid0(VALU_DEP_1) | instskip(SKIP_2) | instid1(VALU_DEP_1)
	v_xor_b32_e32 v0, v0, v3
	s_and_b32 vcc_lo, exec_lo, s2
	s_mov_b32 s2, -1
	v_sub_nc_u32_e32 v0, v0, v3
	s_delay_alu instid0(VALU_DEP_1) | instskip(NEXT) | instid1(VALU_DEP_1)
	v_mul_lo_u32 v2, v0, s14
	v_sub_nc_u32_e32 v2, v1, v2
	s_cbranch_vccz .LBB11_19
; %bb.2:
	s_cmp_lt_i32 s4, 1
	s_cbranch_scc1 .LBB11_18
; %bb.3:
	s_delay_alu instid0(VALU_DEP_1)
	v_cvt_f32_i32_e32 v1, v2
	s_bitcmp1_b32 s31, 0
	v_cvt_f32_i32_e32 v4, v0
	s_cselect_b32 vcc_lo, -1, 0
	s_load_b256 s[12:19], s[0:1], 0x80
	v_dual_add_f32 v3, 0.5, v1 :: v_dual_mul_f32 v1, s30, v1
	s_cmp_gt_i32 s6, 0
	s_mov_b32 s2, 0xbf400000
	s_cselect_b32 s3, -1, 0
	s_delay_alu instid0(VALU_DEP_1)
	v_fma_f32 v3, s30, v3, -0.5
	s_clause 0x1
	s_load_b256 s[20:27], s[0:1], 0x38
	s_load_b64 s[30:31], s[0:1], 0x58
	s_add_co_i32 s7, s10, -1
	s_mov_b32 s5, 0x3fa00000
	s_load_b64 s[10:11], s[0:1], 0x10
	v_dual_cndmask_b32 v3, v3, v1, vcc_lo :: v_dual_add_f32 v1, 0.5, v4
	v_mul_f32_e32 v4, s29, v4
	v_mov_b64_e32 v[26:27], 0x3f80000040400000
	v_mov_b64_e32 v[30:31], 0x404000003f800000
	s_delay_alu instid0(VALU_DEP_4) | instskip(SKIP_2) | instid1(VALU_DEP_2)
	v_floor_f32_e32 v5, v3
	v_fma_f32 v6, s29, v1, -0.5
	s_mov_b32 s9, 0
	v_cvt_i32_f32_e32 v10, v5
	v_dual_ashrrev_i32 v1, 31, v0 :: v_dual_mov_b32 v5, 0
	s_delay_alu instid0(VALU_DEP_3) | instskip(NEXT) | instid1(VALU_DEP_3)
	v_cndmask_b32_e32 v12, v6, v4, vcc_lo
	v_cvt_f32_i32_e32 v4, v10
	v_dual_add_nc_u32 v6, -1, v10 :: v_dual_add_nc_u32 v11, 1, v10
	v_add_nc_u32_e32 v17, 2, v10
	s_wait_kmcnt 0x0
	v_mul_u64_e32 v[14:15], s[16:17], v[0:1]
	v_sub_f32_e32 v16, v3, v4
	v_floor_f32_e32 v7, v12
	v_minmax_i32 v4, v6, s7, 0
	v_ashrrev_i32_e32 v3, 31, v2
	s_mov_b32 s16, s9
	v_add_f32_e32 v1, 1.0, v16
	v_cvt_i32_f32_e32 v34, v7
	v_mul_u64_e32 v[6:7], s[26:27], v[4:5]
	v_minmax_i32 v4, v10, s7, 0
	v_mul_u64_e32 v[18:19], s[18:19], v[2:3]
	v_dual_fmaak_f32 v13, s2, v1, 0x40700000 :: v_dual_sub_f32 v28, 1.0, v16
	v_cvt_f32_i32_e32 v3, v34
	s_delay_alu instid0(VALU_DEP_4) | instskip(SKIP_4) | instid1(VALU_DEP_4)
	v_mul_u64_e32 v[8:9], s[26:27], v[4:5]
	v_minmax_i32 v4, v11, s7, 0
	v_fmaak_f32 v20, s5, v16, 0xc0100000
	v_fmaak_f32 v13, v1, v13, 0xc0c00000
	v_add_f32_e32 v29, 1.0, v28
	v_mul_u64_e32 v[10:11], s[26:27], v[4:5]
	v_minmax_i32 v4, v17, s7, 0
	v_sub_f32_e32 v17, v12, v3
	s_delay_alu instid0(VALU_DEP_1) | instskip(SKIP_1) | instid1(VALU_DEP_2)
	v_dual_mul_f32 v3, v16, v20 :: v_dual_add_f32 v20, 1.0, v17
	v_sub_f32_e32 v22, 1.0, v17
	v_fma_f32 v3, v16, v3, 1.0
	s_delay_alu instid0(VALU_DEP_3) | instskip(NEXT) | instid1(VALU_DEP_3)
	v_fmaak_f32 v16, s2, v20, 0x40700000
	v_fmaak_f32 v23, s5, v22, 0xc0100000
	;; [unrolled: 1-line block ×3, first 2 shown]
	v_mul_u64_e32 v[12:13], s[26:27], v[4:5]
	v_fmaak_f32 v4, s5, v28, 0xc0100000
	v_fmaak_f32 v21, s2, v29, 0x40700000
	;; [unrolled: 1-line block ×3, first 2 shown]
	s_delay_alu instid0(VALU_DEP_2) | instskip(SKIP_2) | instid1(VALU_DEP_3)
	v_dual_mul_f32 v4, v28, v4 :: v_dual_fmaak_f32 v35, v29, v21, 0xc0c00000
	v_fmaak_f32 v21, s5, v17, 0xc0100000
	v_dual_add_f32 v25, 1.0, v22 :: v_dual_mul_f32 v24, v22, v23
	v_fma_f32 v28, v28, v4, 1.0
	s_delay_alu instid0(VALU_DEP_4) | instskip(NEXT) | instid1(VALU_DEP_4)
	v_fmaak_f32 v29, v29, v35, 0x40400000
	v_mul_f32_e32 v21, v17, v21
	s_delay_alu instid0(VALU_DEP_4) | instskip(SKIP_1) | instid1(VALU_DEP_1)
	v_fmaak_f32 v32, s2, v25, 0x40700000
	s_add_co_i32 s5, s8, -1
	v_fmaak_f32 v23, v25, v32, 0xc0c00000
	v_lshl_add_u64 v[32:33], v[14:15], 1, s[30:31]
	v_pk_fma_f32 v[14:15], v[20:21], v[16:17], v[26:27]
	s_delay_alu instid0(VALU_DEP_3) | instskip(NEXT) | instid1(VALU_DEP_3)
	v_pk_fma_f32 v[16:17], v[22:23], v[24:25], v[30:31]
	v_lshl_add_u64 v[18:19], v[18:19], 1, v[32:33]
	v_add_nc_u32_e32 v30, -1, v34
	s_branch .LBB11_5
.LBB11_4:                               ;   in Loop: Header=BB11_5 Depth=1
	s_add_co_i32 s16, s16, 1
	s_delay_alu instid0(SALU_CYCLE_1)
	s_cmp_eq_u32 s16, s4
	s_cbranch_scc1 .LBB11_18
.LBB11_5:                               ; =>This Loop Header: Depth=1
                                        ;     Child Loop BB11_7 Depth 2
                                        ;       Child Loop BB11_8 Depth 3
                                        ;         Child Loop BB11_9 Depth 4
                                        ;         Child Loop BB11_11 Depth 4
	;; [unrolled: 1-line block ×4, first 2 shown]
	s_and_not1_b32 vcc_lo, exec_lo, s3
	s_cbranch_vccnz .LBB11_4
; %bb.6:                                ;   in Loop: Header=BB11_5 Depth=1
	s_mov_b32 s17, s9
	s_mov_b32 s8, 0
	s_mul_u64 s[18:19], s[12:13], s[16:17]
	s_mul_u64 s[26:27], s[20:21], s[16:17]
	v_lshl_add_u64 v[20:21], s[18:19], 1, v[18:19]
	s_lshl_b64 s[18:19], s[26:27], 1
	s_delay_alu instid0(SALU_CYCLE_1)
	s_add_nc_u64 s[18:19], s[10:11], s[18:19]
.LBB11_7:                               ;   Parent Loop BB11_5 Depth=1
                                        ; =>  This Loop Header: Depth=2
                                        ;       Child Loop BB11_8 Depth 3
                                        ;         Child Loop BB11_9 Depth 4
                                        ;         Child Loop BB11_11 Depth 4
	;; [unrolled: 1-line block ×4, first 2 shown]
	s_mul_u64 s[26:27], s[14:15], s[8:9]
	s_mov_b32 s7, 0
	v_lshl_add_u64 v[22:23], s[26:27], 1, v[20:21]
	s_mul_u64 s[26:27], s[22:23], s[8:9]
	s_delay_alu instid0(SALU_CYCLE_1) | instskip(NEXT) | instid1(SALU_CYCLE_1)
	s_lshl_b64 s[26:27], s[26:27], 1
	s_add_nc_u64 s[26:27], s[18:19], s[26:27]
	global_load_u16 v4, v[22:23], off
	s_wait_loadcnt 0x0
	v_lshlrev_b32_e32 v31, 16, v4
.LBB11_8:                               ;   Parent Loop BB11_5 Depth=1
                                        ;     Parent Loop BB11_7 Depth=2
                                        ; =>    This Loop Header: Depth=3
                                        ;         Child Loop BB11_9 Depth 4
                                        ;         Child Loop BB11_11 Depth 4
	;; [unrolled: 1-line block ×4, first 2 shown]
	s_cmp_eq_u32 s7, 1
	s_mov_b32 s17, 0
	s_cselect_b32 vcc_lo, -1, 0
	v_add_nc_u32_e32 v4, s7, v30
	s_cmp_eq_u32 s7, 2
	s_delay_alu instid0(VALU_DEP_1) | instskip(NEXT) | instid1(VALU_DEP_1)
	v_minmax_i32 v4, v4, s5, 0
	v_mul_u64_e32 v[22:23], s[24:25], v[4:5]
	s_delay_alu instid0(VALU_DEP_1) | instskip(NEXT) | instid1(VALU_DEP_1)
	v_lshl_add_u64 v[22:23], v[22:23], 1, s[26:27]
	v_lshl_add_u64 v[24:25], v[6:7], 1, v[22:23]
	s_delay_alu instid0(VALU_DEP_1) | instskip(NEXT) | instid1(VALU_DEP_1)
	v_and_b32_e32 v4, 2, v24
	v_sub_nc_u64_e32 v[26:27], 0, v[4:5]
	s_delay_alu instid0(VALU_DEP_1) | instskip(SKIP_3) | instid1(VALU_DEP_1)
	v_add_nc_u64_e32 v[24:25], v[24:25], v[26:27]
	v_cndmask_b32_e32 v26, v14, v15, vcc_lo
	s_cselect_b32 vcc_lo, -1, 0
	s_cmp_eq_u32 s7, 3
	v_cndmask_b32_e32 v26, v26, v16, vcc_lo
	global_load_b32 v27, v[24:25], off
	s_cselect_b32 vcc_lo, -1, 0
	v_cndmask_b32_e32 v26, v26, v17, vcc_lo
	v_cmp_eq_u64_e32 vcc_lo, 0, v[4:5]
	s_delay_alu instid0(VALU_DEP_2) | instskip(NEXT) | instid1(VALU_DEP_1)
	v_mul_f32_e32 v32, v26, v31
	v_mul_f32_e32 v26, v32, v1
	s_delay_alu instid0(VALU_DEP_1) | instskip(SKIP_1) | instid1(VALU_DEP_2)
	v_bfe_u32 v33, v26, 16, 1
	v_cmp_o_f32_e64 s2, v26, v26
	v_add3_u32 v33, v26, v33, 0x7fff
	s_delay_alu instid0(VALU_DEP_1) | instskip(NEXT) | instid1(VALU_DEP_1)
	v_and_b32_e32 v33, 0xffff0000, v33
	v_cndmask_b32_e64 v4, 0x7fc00000, v33, s2
.LBB11_9:                               ;   Parent Loop BB11_5 Depth=1
                                        ;     Parent Loop BB11_7 Depth=2
                                        ;       Parent Loop BB11_8 Depth=3
                                        ; =>      This Inner Loop Header: Depth=4
	s_wait_loadcnt 0x0
	v_lshrrev_b32_e32 v26, 16, v27
	v_and_b32_e32 v33, 0xffff, v27
	s_delay_alu instid0(VALU_DEP_1) | instskip(NEXT) | instid1(VALU_DEP_1)
	v_cndmask_b32_e32 v26, v26, v33, vcc_lo
	v_lshlrev_b32_e32 v26, 16, v26
	s_delay_alu instid0(VALU_DEP_1) | instskip(NEXT) | instid1(VALU_DEP_1)
	v_add_f32_e32 v26, v4, v26
	v_bfe_u32 v34, v26, 16, 1
	v_cmp_o_f32_e64 s2, v26, v26
	s_delay_alu instid0(VALU_DEP_2) | instskip(NEXT) | instid1(VALU_DEP_1)
	v_add3_u32 v34, v26, v34, 0x7fff
	v_lshrrev_b32_e32 v34, 16, v34
	s_delay_alu instid0(VALU_DEP_1) | instskip(NEXT) | instid1(VALU_DEP_1)
	v_cndmask_b32_e64 v26, 0x7fc0, v34, s2
	v_lshl_or_b32 v33, v26, 16, v33
	v_and_or_b32 v26, 0xffff0000, v27, v26
	s_delay_alu instid0(VALU_DEP_1)
	v_cndmask_b32_e32 v26, v33, v26, vcc_lo
	global_atomic_cmpswap_b32 v26, v[24:25], v[26:27], off th:TH_ATOMIC_RETURN scope:SCOPE_DEV
	s_wait_loadcnt 0x0
	v_cmp_eq_u32_e64 s2, v27, v26
	v_mov_b32_e32 v27, v26
	s_or_b32 s17, s2, s17
	s_delay_alu instid0(SALU_CYCLE_1)
	s_and_not1_b32 exec_lo, exec_lo, s17
	s_cbranch_execnz .LBB11_9
; %bb.10:                               ;   in Loop: Header=BB11_8 Depth=3
	s_or_b32 exec_lo, exec_lo, s17
	v_lshl_add_u64 v[24:25], v[8:9], 1, v[22:23]
	s_mov_b32 s17, 0
	s_delay_alu instid0(VALU_DEP_1) | instskip(NEXT) | instid1(VALU_DEP_1)
	v_and_b32_e32 v4, 2, v24
	v_sub_nc_u64_e32 v[26:27], 0, v[4:5]
	s_delay_alu instid0(VALU_DEP_1) | instskip(SKIP_2) | instid1(VALU_DEP_2)
	v_add_nc_u64_e32 v[24:25], v[24:25], v[26:27]
	v_mul_f32_e32 v26, v32, v3
	v_cmp_eq_u64_e32 vcc_lo, 0, v[4:5]
	v_bfe_u32 v33, v26, 16, 1
	global_load_b32 v27, v[24:25], off
	v_cmp_o_f32_e64 s2, v26, v26
	v_add3_u32 v33, v26, v33, 0x7fff
	s_delay_alu instid0(VALU_DEP_1) | instskip(NEXT) | instid1(VALU_DEP_1)
	v_and_b32_e32 v33, 0xffff0000, v33
	v_cndmask_b32_e64 v4, 0x7fc00000, v33, s2
.LBB11_11:                              ;   Parent Loop BB11_5 Depth=1
                                        ;     Parent Loop BB11_7 Depth=2
                                        ;       Parent Loop BB11_8 Depth=3
                                        ; =>      This Inner Loop Header: Depth=4
	s_wait_loadcnt 0x0
	v_lshrrev_b32_e32 v26, 16, v27
	v_and_b32_e32 v33, 0xffff, v27
	s_delay_alu instid0(VALU_DEP_1) | instskip(NEXT) | instid1(VALU_DEP_1)
	v_cndmask_b32_e32 v26, v26, v33, vcc_lo
	v_lshlrev_b32_e32 v26, 16, v26
	s_delay_alu instid0(VALU_DEP_1) | instskip(NEXT) | instid1(VALU_DEP_1)
	v_add_f32_e32 v26, v4, v26
	v_bfe_u32 v34, v26, 16, 1
	v_cmp_o_f32_e64 s2, v26, v26
	s_delay_alu instid0(VALU_DEP_2) | instskip(NEXT) | instid1(VALU_DEP_1)
	v_add3_u32 v34, v26, v34, 0x7fff
	v_lshrrev_b32_e32 v34, 16, v34
	s_delay_alu instid0(VALU_DEP_1) | instskip(NEXT) | instid1(VALU_DEP_1)
	v_cndmask_b32_e64 v26, 0x7fc0, v34, s2
	v_lshl_or_b32 v33, v26, 16, v33
	v_and_or_b32 v26, 0xffff0000, v27, v26
	s_delay_alu instid0(VALU_DEP_1)
	v_cndmask_b32_e32 v26, v33, v26, vcc_lo
	global_atomic_cmpswap_b32 v26, v[24:25], v[26:27], off th:TH_ATOMIC_RETURN scope:SCOPE_DEV
	s_wait_loadcnt 0x0
	v_cmp_eq_u32_e64 s2, v27, v26
	v_mov_b32_e32 v27, v26
	s_or_b32 s17, s2, s17
	s_delay_alu instid0(SALU_CYCLE_1)
	s_and_not1_b32 exec_lo, exec_lo, s17
	s_cbranch_execnz .LBB11_11
; %bb.12:                               ;   in Loop: Header=BB11_8 Depth=3
	s_or_b32 exec_lo, exec_lo, s17
	v_lshl_add_u64 v[24:25], v[10:11], 1, v[22:23]
	s_mov_b32 s17, 0
	s_delay_alu instid0(VALU_DEP_1) | instskip(NEXT) | instid1(VALU_DEP_1)
	v_and_b32_e32 v4, 2, v24
	v_sub_nc_u64_e32 v[26:27], 0, v[4:5]
	v_cmp_eq_u64_e32 vcc_lo, 0, v[4:5]
	s_delay_alu instid0(VALU_DEP_2) | instskip(SKIP_1) | instid1(VALU_DEP_1)
	v_add_nc_u64_e32 v[24:25], v[24:25], v[26:27]
	v_mul_f32_e32 v26, v32, v28
	v_bfe_u32 v33, v26, 16, 1
	global_load_b32 v27, v[24:25], off
	v_cmp_o_f32_e64 s2, v26, v26
	v_add3_u32 v33, v26, v33, 0x7fff
	s_delay_alu instid0(VALU_DEP_1) | instskip(NEXT) | instid1(VALU_DEP_1)
	v_and_b32_e32 v33, 0xffff0000, v33
	v_cndmask_b32_e64 v4, 0x7fc00000, v33, s2
.LBB11_13:                              ;   Parent Loop BB11_5 Depth=1
                                        ;     Parent Loop BB11_7 Depth=2
                                        ;       Parent Loop BB11_8 Depth=3
                                        ; =>      This Inner Loop Header: Depth=4
	s_wait_loadcnt 0x0
	v_lshrrev_b32_e32 v26, 16, v27
	v_and_b32_e32 v33, 0xffff, v27
	s_delay_alu instid0(VALU_DEP_1) | instskip(NEXT) | instid1(VALU_DEP_1)
	v_cndmask_b32_e32 v26, v26, v33, vcc_lo
	v_lshlrev_b32_e32 v26, 16, v26
	s_delay_alu instid0(VALU_DEP_1) | instskip(NEXT) | instid1(VALU_DEP_1)
	v_add_f32_e32 v26, v4, v26
	v_bfe_u32 v34, v26, 16, 1
	v_cmp_o_f32_e64 s2, v26, v26
	s_delay_alu instid0(VALU_DEP_2) | instskip(NEXT) | instid1(VALU_DEP_1)
	v_add3_u32 v34, v26, v34, 0x7fff
	v_lshrrev_b32_e32 v34, 16, v34
	s_delay_alu instid0(VALU_DEP_1) | instskip(NEXT) | instid1(VALU_DEP_1)
	v_cndmask_b32_e64 v26, 0x7fc0, v34, s2
	v_lshl_or_b32 v33, v26, 16, v33
	v_and_or_b32 v26, 0xffff0000, v27, v26
	s_delay_alu instid0(VALU_DEP_1)
	v_cndmask_b32_e32 v26, v33, v26, vcc_lo
	global_atomic_cmpswap_b32 v26, v[24:25], v[26:27], off th:TH_ATOMIC_RETURN scope:SCOPE_DEV
	s_wait_loadcnt 0x0
	v_cmp_eq_u32_e64 s2, v27, v26
	v_mov_b32_e32 v27, v26
	s_or_b32 s17, s2, s17
	s_delay_alu instid0(SALU_CYCLE_1)
	s_and_not1_b32 exec_lo, exec_lo, s17
	s_cbranch_execnz .LBB11_13
; %bb.14:                               ;   in Loop: Header=BB11_8 Depth=3
	s_or_b32 exec_lo, exec_lo, s17
	v_lshl_add_u64 v[22:23], v[12:13], 1, v[22:23]
	s_mov_b32 s17, 0
	s_delay_alu instid0(VALU_DEP_1) | instskip(NEXT) | instid1(VALU_DEP_1)
	v_and_b32_e32 v4, 2, v22
	v_sub_nc_u64_e32 v[24:25], 0, v[4:5]
	s_delay_alu instid0(VALU_DEP_1) | instskip(SKIP_2) | instid1(VALU_DEP_2)
	v_add_nc_u64_e32 v[22:23], v[22:23], v[24:25]
	v_mul_f32_e32 v24, v32, v29
	v_cmp_eq_u64_e32 vcc_lo, 0, v[4:5]
	v_bfe_u32 v26, v24, 16, 1
	global_load_b32 v25, v[22:23], off
	v_cmp_o_f32_e64 s2, v24, v24
	v_add3_u32 v26, v24, v26, 0x7fff
	s_delay_alu instid0(VALU_DEP_1) | instskip(NEXT) | instid1(VALU_DEP_1)
	v_and_b32_e32 v26, 0xffff0000, v26
	v_cndmask_b32_e64 v4, 0x7fc00000, v26, s2
.LBB11_15:                              ;   Parent Loop BB11_5 Depth=1
                                        ;     Parent Loop BB11_7 Depth=2
                                        ;       Parent Loop BB11_8 Depth=3
                                        ; =>      This Inner Loop Header: Depth=4
	s_wait_loadcnt 0x0
	v_lshrrev_b32_e32 v24, 16, v25
	v_and_b32_e32 v26, 0xffff, v25
	s_delay_alu instid0(VALU_DEP_1) | instskip(NEXT) | instid1(VALU_DEP_1)
	v_cndmask_b32_e32 v24, v24, v26, vcc_lo
	v_lshlrev_b32_e32 v24, 16, v24
	s_delay_alu instid0(VALU_DEP_1) | instskip(NEXT) | instid1(VALU_DEP_1)
	v_add_f32_e32 v24, v4, v24
	v_bfe_u32 v27, v24, 16, 1
	v_cmp_o_f32_e64 s2, v24, v24
	s_delay_alu instid0(VALU_DEP_2) | instskip(NEXT) | instid1(VALU_DEP_1)
	v_add3_u32 v27, v24, v27, 0x7fff
	v_lshrrev_b32_e32 v27, 16, v27
	s_delay_alu instid0(VALU_DEP_1) | instskip(NEXT) | instid1(VALU_DEP_1)
	v_cndmask_b32_e64 v24, 0x7fc0, v27, s2
	v_lshl_or_b32 v26, v24, 16, v26
	v_and_or_b32 v24, 0xffff0000, v25, v24
	s_delay_alu instid0(VALU_DEP_1)
	v_cndmask_b32_e32 v24, v26, v24, vcc_lo
	global_atomic_cmpswap_b32 v24, v[22:23], v[24:25], off th:TH_ATOMIC_RETURN scope:SCOPE_DEV
	s_wait_loadcnt 0x0
	v_cmp_eq_u32_e64 s2, v25, v24
	v_mov_b32_e32 v25, v24
	s_or_b32 s17, s2, s17
	s_delay_alu instid0(SALU_CYCLE_1)
	s_and_not1_b32 exec_lo, exec_lo, s17
	s_cbranch_execnz .LBB11_15
; %bb.16:                               ;   in Loop: Header=BB11_8 Depth=3
	s_or_b32 exec_lo, exec_lo, s17
	s_add_co_i32 s7, s7, 1
	s_delay_alu instid0(SALU_CYCLE_1)
	s_cmp_eq_u32 s7, 4
	s_cbranch_scc0 .LBB11_8
; %bb.17:                               ;   in Loop: Header=BB11_7 Depth=2
	s_add_co_i32 s8, s8, 1
	s_delay_alu instid0(SALU_CYCLE_1)
	s_cmp_eq_u32 s8, s6
	s_cbranch_scc0 .LBB11_7
	s_branch .LBB11_4
.LBB11_18:
	s_mov_b32 s2, 0
.LBB11_19:
	s_delay_alu instid0(SALU_CYCLE_1)
	s_and_not1_b32 vcc_lo, exec_lo, s2
	s_cbranch_vccnz .LBB11_25
; %bb.20:
	s_cmp_lt_i32 s4, 1
	s_cbranch_scc1 .LBB11_25
; %bb.21:
	s_clause 0x1
	s_load_b256 s[8:15], s[0:1], 0x80
	s_load_b256 s[16:23], s[0:1], 0x38
	v_dual_ashrrev_i32 v1, 31, v0 :: v_dual_ashrrev_i32 v3, 31, v2
	s_cmp_gt_i32 s6, 0
	s_mov_b32 s5, 0
	s_cselect_b32 s7, -1, 0
	s_wait_kmcnt 0x0
	v_mul_u64_e32 v[4:5], s[12:13], v[0:1]
	v_mul_u64_e32 v[0:1], s[20:21], v[0:1]
	;; [unrolled: 1-line block ×4, first 2 shown]
	s_clause 0x1
	s_load_b64 s[2:3], s[0:1], 0x58
	s_load_b64 s[12:13], s[0:1], 0x10
	s_wait_xcnt 0x0
	s_lshl_b64 s[0:1], s[16:17], 1
	s_lshl_b64 s[8:9], s[8:9], 1
	;; [unrolled: 1-line block ×3, first 2 shown]
	s_wait_kmcnt 0x0
	s_delay_alu instid0(VALU_DEP_4) | instskip(NEXT) | instid1(VALU_DEP_4)
	v_lshl_add_u64 v[4:5], v[4:5], 1, s[2:3]
	v_lshl_add_u64 v[8:9], v[0:1], 1, s[12:13]
	s_lshl_b64 s[2:3], s[18:19], 1
	s_delay_alu instid0(VALU_DEP_2) | instskip(NEXT) | instid1(VALU_DEP_2)
	v_lshl_add_u64 v[0:1], v[6:7], 1, v[4:5]
	v_lshl_add_u64 v[2:3], v[2:3], 1, v[8:9]
	s_branch .LBB11_23
.LBB11_22:                              ;   in Loop: Header=BB11_23 Depth=1
	v_add_nc_u64_e32 v[2:3], s[0:1], v[2:3]
	v_add_nc_u64_e32 v[0:1], s[8:9], v[0:1]
	s_add_co_i32 s5, s5, 1
	s_delay_alu instid0(SALU_CYCLE_1)
	s_cmp_eq_u32 s5, s4
	s_cbranch_scc1 .LBB11_25
.LBB11_23:                              ; =>This Loop Header: Depth=1
                                        ;     Child Loop BB11_24 Depth 2
	s_delay_alu instid0(VALU_DEP_1) | instskip(NEXT) | instid1(VALU_DEP_2)
	v_mov_b64_e32 v[4:5], v[0:1]
	v_mov_b64_e32 v[6:7], v[2:3]
	s_and_not1_b32 vcc_lo, exec_lo, s7
	s_mov_b32 s12, s6
	s_cbranch_vccnz .LBB11_22
.LBB11_24:                              ;   Parent Loop BB11_23 Depth=1
                                        ; =>  This Inner Loop Header: Depth=2
	global_load_u16 v8, v[4:5], off
	s_wait_xcnt 0x0
	v_add_nc_u64_e32 v[4:5], s[10:11], v[4:5]
	s_add_co_i32 s12, s12, -1
	s_delay_alu instid0(SALU_CYCLE_1)
	s_cmp_eq_u32 s12, 0
	s_wait_loadcnt 0x0
	global_store_b16 v[6:7], v8, off
	s_wait_xcnt 0x0
	v_add_nc_u64_e32 v[6:7], s[2:3], v[6:7]
	s_cbranch_scc0 .LBB11_24
	s_branch .LBB11_22
.LBB11_25:
	s_endpgm
	.section	.rodata,"a",@progbits
	.p2align	6, 0x0
	.amdhsa_kernel _ZN2at6native12_GLOBAL__N_137upsample_bicubic2d_backward_out_frameIN3c108BFloat16EfEEviT0_S5_bN5torch10headeronly6detail27GenericPackedTensorAccessorINS8_14TensorAccessorINS3_8ArrayRefIlEET_Lm3ENS7_16DefaultPtrTraitsElEENS_6detail16IndexBoundsCheckILm4ElEESD_Lm4ESE_lEENS9_INSA_ISC_KSD_Lm3ESE_lEESI_SK_Lm4ESE_lEE
		.amdhsa_group_segment_fixed_size 0
		.amdhsa_private_segment_fixed_size 0
		.amdhsa_kernarg_size 416
		.amdhsa_user_sgpr_count 2
		.amdhsa_user_sgpr_dispatch_ptr 0
		.amdhsa_user_sgpr_queue_ptr 0
		.amdhsa_user_sgpr_kernarg_segment_ptr 1
		.amdhsa_user_sgpr_dispatch_id 0
		.amdhsa_user_sgpr_kernarg_preload_length 0
		.amdhsa_user_sgpr_kernarg_preload_offset 0
		.amdhsa_user_sgpr_private_segment_size 0
		.amdhsa_wavefront_size32 1
		.amdhsa_uses_dynamic_stack 0
		.amdhsa_enable_private_segment 0
		.amdhsa_system_sgpr_workgroup_id_x 1
		.amdhsa_system_sgpr_workgroup_id_y 0
		.amdhsa_system_sgpr_workgroup_id_z 0
		.amdhsa_system_sgpr_workgroup_info 0
		.amdhsa_system_vgpr_workitem_id 0
		.amdhsa_next_free_vgpr 36
		.amdhsa_next_free_sgpr 32
		.amdhsa_named_barrier_count 0
		.amdhsa_reserve_vcc 1
		.amdhsa_float_round_mode_32 0
		.amdhsa_float_round_mode_16_64 0
		.amdhsa_float_denorm_mode_32 3
		.amdhsa_float_denorm_mode_16_64 3
		.amdhsa_fp16_overflow 0
		.amdhsa_memory_ordered 1
		.amdhsa_forward_progress 1
		.amdhsa_inst_pref_size 20
		.amdhsa_round_robin_scheduling 0
		.amdhsa_exception_fp_ieee_invalid_op 0
		.amdhsa_exception_fp_denorm_src 0
		.amdhsa_exception_fp_ieee_div_zero 0
		.amdhsa_exception_fp_ieee_overflow 0
		.amdhsa_exception_fp_ieee_underflow 0
		.amdhsa_exception_fp_ieee_inexact 0
		.amdhsa_exception_int_div_zero 0
	.end_amdhsa_kernel
	.section	.text._ZN2at6native12_GLOBAL__N_137upsample_bicubic2d_backward_out_frameIN3c108BFloat16EfEEviT0_S5_bN5torch10headeronly6detail27GenericPackedTensorAccessorINS8_14TensorAccessorINS3_8ArrayRefIlEET_Lm3ENS7_16DefaultPtrTraitsElEENS_6detail16IndexBoundsCheckILm4ElEESD_Lm4ESE_lEENS9_INSA_ISC_KSD_Lm3ESE_lEESI_SK_Lm4ESE_lEE,"axG",@progbits,_ZN2at6native12_GLOBAL__N_137upsample_bicubic2d_backward_out_frameIN3c108BFloat16EfEEviT0_S5_bN5torch10headeronly6detail27GenericPackedTensorAccessorINS8_14TensorAccessorINS3_8ArrayRefIlEET_Lm3ENS7_16DefaultPtrTraitsElEENS_6detail16IndexBoundsCheckILm4ElEESD_Lm4ESE_lEENS9_INSA_ISC_KSD_Lm3ESE_lEESI_SK_Lm4ESE_lEE,comdat
.Lfunc_end11:
	.size	_ZN2at6native12_GLOBAL__N_137upsample_bicubic2d_backward_out_frameIN3c108BFloat16EfEEviT0_S5_bN5torch10headeronly6detail27GenericPackedTensorAccessorINS8_14TensorAccessorINS3_8ArrayRefIlEET_Lm3ENS7_16DefaultPtrTraitsElEENS_6detail16IndexBoundsCheckILm4ElEESD_Lm4ESE_lEENS9_INSA_ISC_KSD_Lm3ESE_lEESI_SK_Lm4ESE_lEE, .Lfunc_end11-_ZN2at6native12_GLOBAL__N_137upsample_bicubic2d_backward_out_frameIN3c108BFloat16EfEEviT0_S5_bN5torch10headeronly6detail27GenericPackedTensorAccessorINS8_14TensorAccessorINS3_8ArrayRefIlEET_Lm3ENS7_16DefaultPtrTraitsElEENS_6detail16IndexBoundsCheckILm4ElEESD_Lm4ESE_lEENS9_INSA_ISC_KSD_Lm3ESE_lEESI_SK_Lm4ESE_lEE
                                        ; -- End function
	.set _ZN2at6native12_GLOBAL__N_137upsample_bicubic2d_backward_out_frameIN3c108BFloat16EfEEviT0_S5_bN5torch10headeronly6detail27GenericPackedTensorAccessorINS8_14TensorAccessorINS3_8ArrayRefIlEET_Lm3ENS7_16DefaultPtrTraitsElEENS_6detail16IndexBoundsCheckILm4ElEESD_Lm4ESE_lEENS9_INSA_ISC_KSD_Lm3ESE_lEESI_SK_Lm4ESE_lEE.num_vgpr, 36
	.set _ZN2at6native12_GLOBAL__N_137upsample_bicubic2d_backward_out_frameIN3c108BFloat16EfEEviT0_S5_bN5torch10headeronly6detail27GenericPackedTensorAccessorINS8_14TensorAccessorINS3_8ArrayRefIlEET_Lm3ENS7_16DefaultPtrTraitsElEENS_6detail16IndexBoundsCheckILm4ElEESD_Lm4ESE_lEENS9_INSA_ISC_KSD_Lm3ESE_lEESI_SK_Lm4ESE_lEE.num_agpr, 0
	.set _ZN2at6native12_GLOBAL__N_137upsample_bicubic2d_backward_out_frameIN3c108BFloat16EfEEviT0_S5_bN5torch10headeronly6detail27GenericPackedTensorAccessorINS8_14TensorAccessorINS3_8ArrayRefIlEET_Lm3ENS7_16DefaultPtrTraitsElEENS_6detail16IndexBoundsCheckILm4ElEESD_Lm4ESE_lEENS9_INSA_ISC_KSD_Lm3ESE_lEESI_SK_Lm4ESE_lEE.numbered_sgpr, 32
	.set _ZN2at6native12_GLOBAL__N_137upsample_bicubic2d_backward_out_frameIN3c108BFloat16EfEEviT0_S5_bN5torch10headeronly6detail27GenericPackedTensorAccessorINS8_14TensorAccessorINS3_8ArrayRefIlEET_Lm3ENS7_16DefaultPtrTraitsElEENS_6detail16IndexBoundsCheckILm4ElEESD_Lm4ESE_lEENS9_INSA_ISC_KSD_Lm3ESE_lEESI_SK_Lm4ESE_lEE.num_named_barrier, 0
	.set _ZN2at6native12_GLOBAL__N_137upsample_bicubic2d_backward_out_frameIN3c108BFloat16EfEEviT0_S5_bN5torch10headeronly6detail27GenericPackedTensorAccessorINS8_14TensorAccessorINS3_8ArrayRefIlEET_Lm3ENS7_16DefaultPtrTraitsElEENS_6detail16IndexBoundsCheckILm4ElEESD_Lm4ESE_lEENS9_INSA_ISC_KSD_Lm3ESE_lEESI_SK_Lm4ESE_lEE.private_seg_size, 0
	.set _ZN2at6native12_GLOBAL__N_137upsample_bicubic2d_backward_out_frameIN3c108BFloat16EfEEviT0_S5_bN5torch10headeronly6detail27GenericPackedTensorAccessorINS8_14TensorAccessorINS3_8ArrayRefIlEET_Lm3ENS7_16DefaultPtrTraitsElEENS_6detail16IndexBoundsCheckILm4ElEESD_Lm4ESE_lEENS9_INSA_ISC_KSD_Lm3ESE_lEESI_SK_Lm4ESE_lEE.uses_vcc, 1
	.set _ZN2at6native12_GLOBAL__N_137upsample_bicubic2d_backward_out_frameIN3c108BFloat16EfEEviT0_S5_bN5torch10headeronly6detail27GenericPackedTensorAccessorINS8_14TensorAccessorINS3_8ArrayRefIlEET_Lm3ENS7_16DefaultPtrTraitsElEENS_6detail16IndexBoundsCheckILm4ElEESD_Lm4ESE_lEENS9_INSA_ISC_KSD_Lm3ESE_lEESI_SK_Lm4ESE_lEE.uses_flat_scratch, 0
	.set _ZN2at6native12_GLOBAL__N_137upsample_bicubic2d_backward_out_frameIN3c108BFloat16EfEEviT0_S5_bN5torch10headeronly6detail27GenericPackedTensorAccessorINS8_14TensorAccessorINS3_8ArrayRefIlEET_Lm3ENS7_16DefaultPtrTraitsElEENS_6detail16IndexBoundsCheckILm4ElEESD_Lm4ESE_lEENS9_INSA_ISC_KSD_Lm3ESE_lEESI_SK_Lm4ESE_lEE.has_dyn_sized_stack, 0
	.set _ZN2at6native12_GLOBAL__N_137upsample_bicubic2d_backward_out_frameIN3c108BFloat16EfEEviT0_S5_bN5torch10headeronly6detail27GenericPackedTensorAccessorINS8_14TensorAccessorINS3_8ArrayRefIlEET_Lm3ENS7_16DefaultPtrTraitsElEENS_6detail16IndexBoundsCheckILm4ElEESD_Lm4ESE_lEENS9_INSA_ISC_KSD_Lm3ESE_lEESI_SK_Lm4ESE_lEE.has_recursion, 0
	.set _ZN2at6native12_GLOBAL__N_137upsample_bicubic2d_backward_out_frameIN3c108BFloat16EfEEviT0_S5_bN5torch10headeronly6detail27GenericPackedTensorAccessorINS8_14TensorAccessorINS3_8ArrayRefIlEET_Lm3ENS7_16DefaultPtrTraitsElEENS_6detail16IndexBoundsCheckILm4ElEESD_Lm4ESE_lEENS9_INSA_ISC_KSD_Lm3ESE_lEESI_SK_Lm4ESE_lEE.has_indirect_call, 0
	.section	.AMDGPU.csdata,"",@progbits
; Kernel info:
; codeLenInByte = 2484
; TotalNumSgprs: 34
; NumVgprs: 36
; ScratchSize: 0
; MemoryBound: 0
; FloatMode: 240
; IeeeMode: 1
; LDSByteSize: 0 bytes/workgroup (compile time only)
; SGPRBlocks: 0
; VGPRBlocks: 2
; NumSGPRsForWavesPerEU: 34
; NumVGPRsForWavesPerEU: 36
; NamedBarCnt: 0
; Occupancy: 16
; WaveLimiterHint : 1
; COMPUTE_PGM_RSRC2:SCRATCH_EN: 0
; COMPUTE_PGM_RSRC2:USER_SGPR: 2
; COMPUTE_PGM_RSRC2:TRAP_HANDLER: 0
; COMPUTE_PGM_RSRC2:TGID_X_EN: 1
; COMPUTE_PGM_RSRC2:TGID_Y_EN: 0
; COMPUTE_PGM_RSRC2:TGID_Z_EN: 0
; COMPUTE_PGM_RSRC2:TIDIG_COMP_CNT: 0
	.section	.AMDGPU.gpr_maximums,"",@progbits
	.set amdgpu.max_num_vgpr, 0
	.set amdgpu.max_num_agpr, 0
	.set amdgpu.max_num_sgpr, 0
	.section	.AMDGPU.csdata,"",@progbits
	.type	__hip_cuid_edf952e6f49a3b99,@object ; @__hip_cuid_edf952e6f49a3b99
	.section	.bss,"aw",@nobits
	.globl	__hip_cuid_edf952e6f49a3b99
__hip_cuid_edf952e6f49a3b99:
	.byte	0                               ; 0x0
	.size	__hip_cuid_edf952e6f49a3b99, 1

	.ident	"AMD clang version 22.0.0git (https://github.com/RadeonOpenCompute/llvm-project roc-7.2.4 26084 f58b06dce1f9c15707c5f808fd002e18c2accf7e)"
	.section	".note.GNU-stack","",@progbits
	.addrsig
	.addrsig_sym __hip_cuid_edf952e6f49a3b99
	.amdgpu_metadata
---
amdhsa.kernels:
  - .args:
      - .offset:         0
        .size:           4
        .value_kind:     by_value
      - .offset:         8
        .size:           8
        .value_kind:     by_value
      - .offset:         16
        .size:           8
        .value_kind:     by_value
      - .offset:         24
        .size:           1
        .value_kind:     by_value
      - .offset:         32
        .size:           72
        .value_kind:     by_value
      - .offset:         104
        .size:           72
        .value_kind:     by_value
      - .offset:         176
        .size:           4
        .value_kind:     hidden_block_count_x
      - .offset:         180
        .size:           4
        .value_kind:     hidden_block_count_y
      - .offset:         184
        .size:           4
        .value_kind:     hidden_block_count_z
      - .offset:         188
        .size:           2
        .value_kind:     hidden_group_size_x
      - .offset:         190
        .size:           2
        .value_kind:     hidden_group_size_y
      - .offset:         192
        .size:           2
        .value_kind:     hidden_group_size_z
      - .offset:         194
        .size:           2
        .value_kind:     hidden_remainder_x
      - .offset:         196
        .size:           2
        .value_kind:     hidden_remainder_y
      - .offset:         198
        .size:           2
        .value_kind:     hidden_remainder_z
      - .offset:         216
        .size:           8
        .value_kind:     hidden_global_offset_x
      - .offset:         224
        .size:           8
        .value_kind:     hidden_global_offset_y
      - .offset:         232
        .size:           8
        .value_kind:     hidden_global_offset_z
      - .offset:         240
        .size:           2
        .value_kind:     hidden_grid_dims
    .group_segment_fixed_size: 0
    .kernarg_segment_align: 8
    .kernarg_segment_size: 432
    .language:       OpenCL C
    .language_version:
      - 2
      - 0
    .max_flat_workgroup_size: 1024
    .name:           _ZN2at6native12_GLOBAL__N_137upsample_bicubic2d_out_frame_parallelIddEEviT0_S3_bN5torch10headeronly6detail27GenericPackedTensorAccessorINS6_14TensorAccessorIN3c108ArrayRefIlEEKT_Lm3ENS5_16DefaultPtrTraitsElEENS_6detail16IndexBoundsCheckILm4ElEESD_Lm4ESE_lEENS7_INS8_ISB_SC_Lm3ESE_lEESI_SC_Lm4ESE_lEE
    .private_segment_fixed_size: 0
    .sgpr_count:     40
    .sgpr_spill_count: 0
    .symbol:         _ZN2at6native12_GLOBAL__N_137upsample_bicubic2d_out_frame_parallelIddEEviT0_S3_bN5torch10headeronly6detail27GenericPackedTensorAccessorINS6_14TensorAccessorIN3c108ArrayRefIlEEKT_Lm3ENS5_16DefaultPtrTraitsElEENS_6detail16IndexBoundsCheckILm4ElEESD_Lm4ESE_lEENS7_INS8_ISB_SC_Lm3ESE_lEESI_SC_Lm4ESE_lEE.kd
    .uniform_work_group_size: 1
    .uses_dynamic_stack: false
    .vgpr_count:     64
    .vgpr_spill_count: 0
    .wavefront_size: 32
  - .args:
      - .offset:         0
        .size:           4
        .value_kind:     by_value
      - .offset:         8
        .size:           8
        .value_kind:     by_value
      - .offset:         16
        .size:           8
        .value_kind:     by_value
      - .offset:         24
        .size:           1
        .value_kind:     by_value
      - .offset:         32
        .size:           72
        .value_kind:     by_value
      - .offset:         104
        .size:           72
        .value_kind:     by_value
      - .offset:         176
        .size:           4
        .value_kind:     hidden_block_count_x
      - .offset:         180
        .size:           4
        .value_kind:     hidden_block_count_y
      - .offset:         184
        .size:           4
        .value_kind:     hidden_block_count_z
      - .offset:         188
        .size:           2
        .value_kind:     hidden_group_size_x
      - .offset:         190
        .size:           2
        .value_kind:     hidden_group_size_y
      - .offset:         192
        .size:           2
        .value_kind:     hidden_group_size_z
      - .offset:         194
        .size:           2
        .value_kind:     hidden_remainder_x
      - .offset:         196
        .size:           2
        .value_kind:     hidden_remainder_y
      - .offset:         198
        .size:           2
        .value_kind:     hidden_remainder_z
      - .offset:         216
        .size:           8
        .value_kind:     hidden_global_offset_x
      - .offset:         224
        .size:           8
        .value_kind:     hidden_global_offset_y
      - .offset:         232
        .size:           8
        .value_kind:     hidden_global_offset_z
      - .offset:         240
        .size:           2
        .value_kind:     hidden_grid_dims
    .group_segment_fixed_size: 0
    .kernarg_segment_align: 8
    .kernarg_segment_size: 432
    .language:       OpenCL C
    .language_version:
      - 2
      - 0
    .max_flat_workgroup_size: 1024
    .name:           _ZN2at6native12_GLOBAL__N_128upsample_bicubic2d_out_frameIddEEviT0_S3_bN5torch10headeronly6detail27GenericPackedTensorAccessorINS6_14TensorAccessorIN3c108ArrayRefIlEEKT_Lm3ENS5_16DefaultPtrTraitsElEENS_6detail16IndexBoundsCheckILm4ElEESD_Lm4ESE_lEENS7_INS8_ISB_SC_Lm3ESE_lEESI_SC_Lm4ESE_lEE
    .private_segment_fixed_size: 0
    .sgpr_count:     30
    .sgpr_spill_count: 0
    .symbol:         _ZN2at6native12_GLOBAL__N_128upsample_bicubic2d_out_frameIddEEviT0_S3_bN5torch10headeronly6detail27GenericPackedTensorAccessorINS6_14TensorAccessorIN3c108ArrayRefIlEEKT_Lm3ENS5_16DefaultPtrTraitsElEENS_6detail16IndexBoundsCheckILm4ElEESD_Lm4ESE_lEENS7_INS8_ISB_SC_Lm3ESE_lEESI_SC_Lm4ESE_lEE.kd
    .uniform_work_group_size: 1
    .uses_dynamic_stack: false
    .vgpr_count:     82
    .vgpr_spill_count: 0
    .wavefront_size: 32
  - .args:
      - .offset:         0
        .size:           4
        .value_kind:     by_value
      - .offset:         4
        .size:           4
        .value_kind:     by_value
      - .offset:         8
        .size:           4
        .value_kind:     by_value
      - .offset:         12
        .size:           1
        .value_kind:     by_value
      - .offset:         16
        .size:           72
        .value_kind:     by_value
      - .offset:         88
        .size:           72
        .value_kind:     by_value
      - .offset:         160
        .size:           4
        .value_kind:     hidden_block_count_x
      - .offset:         164
        .size:           4
        .value_kind:     hidden_block_count_y
      - .offset:         168
        .size:           4
        .value_kind:     hidden_block_count_z
      - .offset:         172
        .size:           2
        .value_kind:     hidden_group_size_x
      - .offset:         174
        .size:           2
        .value_kind:     hidden_group_size_y
      - .offset:         176
        .size:           2
        .value_kind:     hidden_group_size_z
      - .offset:         178
        .size:           2
        .value_kind:     hidden_remainder_x
      - .offset:         180
        .size:           2
        .value_kind:     hidden_remainder_y
      - .offset:         182
        .size:           2
        .value_kind:     hidden_remainder_z
      - .offset:         200
        .size:           8
        .value_kind:     hidden_global_offset_x
      - .offset:         208
        .size:           8
        .value_kind:     hidden_global_offset_y
      - .offset:         216
        .size:           8
        .value_kind:     hidden_global_offset_z
      - .offset:         224
        .size:           2
        .value_kind:     hidden_grid_dims
    .group_segment_fixed_size: 0
    .kernarg_segment_align: 8
    .kernarg_segment_size: 416
    .language:       OpenCL C
    .language_version:
      - 2
      - 0
    .max_flat_workgroup_size: 1024
    .name:           _ZN2at6native12_GLOBAL__N_137upsample_bicubic2d_out_frame_parallelIffEEviT0_S3_bN5torch10headeronly6detail27GenericPackedTensorAccessorINS6_14TensorAccessorIN3c108ArrayRefIlEEKT_Lm3ENS5_16DefaultPtrTraitsElEENS_6detail16IndexBoundsCheckILm4ElEESD_Lm4ESE_lEENS7_INS8_ISB_SC_Lm3ESE_lEESI_SC_Lm4ESE_lEE
    .private_segment_fixed_size: 0
    .sgpr_count:     40
    .sgpr_spill_count: 0
    .symbol:         _ZN2at6native12_GLOBAL__N_137upsample_bicubic2d_out_frame_parallelIffEEviT0_S3_bN5torch10headeronly6detail27GenericPackedTensorAccessorINS6_14TensorAccessorIN3c108ArrayRefIlEEKT_Lm3ENS5_16DefaultPtrTraitsElEENS_6detail16IndexBoundsCheckILm4ElEESD_Lm4ESE_lEENS7_INS8_ISB_SC_Lm3ESE_lEESI_SC_Lm4ESE_lEE.kd
    .uniform_work_group_size: 1
    .uses_dynamic_stack: false
    .vgpr_count:     68
    .vgpr_spill_count: 0
    .wavefront_size: 32
  - .args:
      - .offset:         0
        .size:           4
        .value_kind:     by_value
      - .offset:         4
        .size:           4
        .value_kind:     by_value
      - .offset:         8
        .size:           4
        .value_kind:     by_value
      - .offset:         12
        .size:           1
        .value_kind:     by_value
      - .offset:         16
        .size:           72
        .value_kind:     by_value
      - .offset:         88
        .size:           72
        .value_kind:     by_value
      - .offset:         160
        .size:           4
        .value_kind:     hidden_block_count_x
      - .offset:         164
        .size:           4
        .value_kind:     hidden_block_count_y
      - .offset:         168
        .size:           4
        .value_kind:     hidden_block_count_z
      - .offset:         172
        .size:           2
        .value_kind:     hidden_group_size_x
      - .offset:         174
        .size:           2
        .value_kind:     hidden_group_size_y
      - .offset:         176
        .size:           2
        .value_kind:     hidden_group_size_z
      - .offset:         178
        .size:           2
        .value_kind:     hidden_remainder_x
      - .offset:         180
        .size:           2
        .value_kind:     hidden_remainder_y
      - .offset:         182
        .size:           2
        .value_kind:     hidden_remainder_z
      - .offset:         200
        .size:           8
        .value_kind:     hidden_global_offset_x
      - .offset:         208
        .size:           8
        .value_kind:     hidden_global_offset_y
      - .offset:         216
        .size:           8
        .value_kind:     hidden_global_offset_z
      - .offset:         224
        .size:           2
        .value_kind:     hidden_grid_dims
    .group_segment_fixed_size: 0
    .kernarg_segment_align: 8
    .kernarg_segment_size: 416
    .language:       OpenCL C
    .language_version:
      - 2
      - 0
    .max_flat_workgroup_size: 1024
    .name:           _ZN2at6native12_GLOBAL__N_128upsample_bicubic2d_out_frameIffEEviT0_S3_bN5torch10headeronly6detail27GenericPackedTensorAccessorINS6_14TensorAccessorIN3c108ArrayRefIlEEKT_Lm3ENS5_16DefaultPtrTraitsElEENS_6detail16IndexBoundsCheckILm4ElEESD_Lm4ESE_lEENS7_INS8_ISB_SC_Lm3ESE_lEESI_SC_Lm4ESE_lEE
    .private_segment_fixed_size: 0
    .sgpr_count:     33
    .sgpr_spill_count: 0
    .symbol:         _ZN2at6native12_GLOBAL__N_128upsample_bicubic2d_out_frameIffEEviT0_S3_bN5torch10headeronly6detail27GenericPackedTensorAccessorINS6_14TensorAccessorIN3c108ArrayRefIlEEKT_Lm3ENS5_16DefaultPtrTraitsElEENS_6detail16IndexBoundsCheckILm4ElEESD_Lm4ESE_lEENS7_INS8_ISB_SC_Lm3ESE_lEESI_SC_Lm4ESE_lEE.kd
    .uniform_work_group_size: 1
    .uses_dynamic_stack: false
    .vgpr_count:     82
    .vgpr_spill_count: 0
    .wavefront_size: 32
  - .args:
      - .offset:         0
        .size:           4
        .value_kind:     by_value
      - .offset:         4
        .size:           4
        .value_kind:     by_value
      - .offset:         8
        .size:           4
        .value_kind:     by_value
      - .offset:         12
        .size:           1
        .value_kind:     by_value
      - .offset:         16
        .size:           72
        .value_kind:     by_value
      - .offset:         88
        .size:           72
        .value_kind:     by_value
      - .offset:         160
        .size:           4
        .value_kind:     hidden_block_count_x
      - .offset:         164
        .size:           4
        .value_kind:     hidden_block_count_y
      - .offset:         168
        .size:           4
        .value_kind:     hidden_block_count_z
      - .offset:         172
        .size:           2
        .value_kind:     hidden_group_size_x
      - .offset:         174
        .size:           2
        .value_kind:     hidden_group_size_y
      - .offset:         176
        .size:           2
        .value_kind:     hidden_group_size_z
      - .offset:         178
        .size:           2
        .value_kind:     hidden_remainder_x
      - .offset:         180
        .size:           2
        .value_kind:     hidden_remainder_y
      - .offset:         182
        .size:           2
        .value_kind:     hidden_remainder_z
      - .offset:         200
        .size:           8
        .value_kind:     hidden_global_offset_x
      - .offset:         208
        .size:           8
        .value_kind:     hidden_global_offset_y
      - .offset:         216
        .size:           8
        .value_kind:     hidden_global_offset_z
      - .offset:         224
        .size:           2
        .value_kind:     hidden_grid_dims
    .group_segment_fixed_size: 0
    .kernarg_segment_align: 8
    .kernarg_segment_size: 416
    .language:       OpenCL C
    .language_version:
      - 2
      - 0
    .max_flat_workgroup_size: 1024
    .name:           _ZN2at6native12_GLOBAL__N_137upsample_bicubic2d_out_frame_parallelIN3c104HalfEfEEviT0_S5_bN5torch10headeronly6detail27GenericPackedTensorAccessorINS8_14TensorAccessorINS3_8ArrayRefIlEEKT_Lm3ENS7_16DefaultPtrTraitsElEENS_6detail16IndexBoundsCheckILm4ElEESE_Lm4ESF_lEENS9_INSA_ISC_SD_Lm3ESF_lEESJ_SD_Lm4ESF_lEE
    .private_segment_fixed_size: 0
    .sgpr_count:     40
    .sgpr_spill_count: 0
    .symbol:         _ZN2at6native12_GLOBAL__N_137upsample_bicubic2d_out_frame_parallelIN3c104HalfEfEEviT0_S5_bN5torch10headeronly6detail27GenericPackedTensorAccessorINS8_14TensorAccessorINS3_8ArrayRefIlEEKT_Lm3ENS7_16DefaultPtrTraitsElEENS_6detail16IndexBoundsCheckILm4ElEESE_Lm4ESF_lEENS9_INSA_ISC_SD_Lm3ESF_lEESJ_SD_Lm4ESF_lEE.kd
    .uniform_work_group_size: 1
    .uses_dynamic_stack: false
    .vgpr_count:     66
    .vgpr_spill_count: 0
    .wavefront_size: 32
  - .args:
      - .offset:         0
        .size:           4
        .value_kind:     by_value
      - .offset:         4
        .size:           4
        .value_kind:     by_value
      - .offset:         8
        .size:           4
        .value_kind:     by_value
      - .offset:         12
        .size:           1
        .value_kind:     by_value
      - .offset:         16
        .size:           72
        .value_kind:     by_value
      - .offset:         88
        .size:           72
        .value_kind:     by_value
      - .offset:         160
        .size:           4
        .value_kind:     hidden_block_count_x
      - .offset:         164
        .size:           4
        .value_kind:     hidden_block_count_y
      - .offset:         168
        .size:           4
        .value_kind:     hidden_block_count_z
      - .offset:         172
        .size:           2
        .value_kind:     hidden_group_size_x
      - .offset:         174
        .size:           2
        .value_kind:     hidden_group_size_y
      - .offset:         176
        .size:           2
        .value_kind:     hidden_group_size_z
      - .offset:         178
        .size:           2
        .value_kind:     hidden_remainder_x
      - .offset:         180
        .size:           2
        .value_kind:     hidden_remainder_y
      - .offset:         182
        .size:           2
        .value_kind:     hidden_remainder_z
      - .offset:         200
        .size:           8
        .value_kind:     hidden_global_offset_x
      - .offset:         208
        .size:           8
        .value_kind:     hidden_global_offset_y
      - .offset:         216
        .size:           8
        .value_kind:     hidden_global_offset_z
      - .offset:         224
        .size:           2
        .value_kind:     hidden_grid_dims
    .group_segment_fixed_size: 0
    .kernarg_segment_align: 8
    .kernarg_segment_size: 416
    .language:       OpenCL C
    .language_version:
      - 2
      - 0
    .max_flat_workgroup_size: 1024
    .name:           _ZN2at6native12_GLOBAL__N_128upsample_bicubic2d_out_frameIN3c104HalfEfEEviT0_S5_bN5torch10headeronly6detail27GenericPackedTensorAccessorINS8_14TensorAccessorINS3_8ArrayRefIlEEKT_Lm3ENS7_16DefaultPtrTraitsElEENS_6detail16IndexBoundsCheckILm4ElEESE_Lm4ESF_lEENS9_INSA_ISC_SD_Lm3ESF_lEESJ_SD_Lm4ESF_lEE
    .private_segment_fixed_size: 0
    .sgpr_count:     33
    .sgpr_spill_count: 0
    .symbol:         _ZN2at6native12_GLOBAL__N_128upsample_bicubic2d_out_frameIN3c104HalfEfEEviT0_S5_bN5torch10headeronly6detail27GenericPackedTensorAccessorINS8_14TensorAccessorINS3_8ArrayRefIlEEKT_Lm3ENS7_16DefaultPtrTraitsElEENS_6detail16IndexBoundsCheckILm4ElEESE_Lm4ESF_lEENS9_INSA_ISC_SD_Lm3ESF_lEESJ_SD_Lm4ESF_lEE.kd
    .uniform_work_group_size: 1
    .uses_dynamic_stack: false
    .vgpr_count:     68
    .vgpr_spill_count: 0
    .wavefront_size: 32
  - .args:
      - .offset:         0
        .size:           4
        .value_kind:     by_value
      - .offset:         4
        .size:           4
        .value_kind:     by_value
      - .offset:         8
        .size:           4
        .value_kind:     by_value
      - .offset:         12
        .size:           1
        .value_kind:     by_value
      - .offset:         16
        .size:           72
        .value_kind:     by_value
      - .offset:         88
        .size:           72
        .value_kind:     by_value
      - .offset:         160
        .size:           4
        .value_kind:     hidden_block_count_x
      - .offset:         164
        .size:           4
        .value_kind:     hidden_block_count_y
      - .offset:         168
        .size:           4
        .value_kind:     hidden_block_count_z
      - .offset:         172
        .size:           2
        .value_kind:     hidden_group_size_x
      - .offset:         174
        .size:           2
        .value_kind:     hidden_group_size_y
      - .offset:         176
        .size:           2
        .value_kind:     hidden_group_size_z
      - .offset:         178
        .size:           2
        .value_kind:     hidden_remainder_x
      - .offset:         180
        .size:           2
        .value_kind:     hidden_remainder_y
      - .offset:         182
        .size:           2
        .value_kind:     hidden_remainder_z
      - .offset:         200
        .size:           8
        .value_kind:     hidden_global_offset_x
      - .offset:         208
        .size:           8
        .value_kind:     hidden_global_offset_y
      - .offset:         216
        .size:           8
        .value_kind:     hidden_global_offset_z
      - .offset:         224
        .size:           2
        .value_kind:     hidden_grid_dims
    .group_segment_fixed_size: 0
    .kernarg_segment_align: 8
    .kernarg_segment_size: 416
    .language:       OpenCL C
    .language_version:
      - 2
      - 0
    .max_flat_workgroup_size: 1024
    .name:           _ZN2at6native12_GLOBAL__N_137upsample_bicubic2d_out_frame_parallelIN3c108BFloat16EfEEviT0_S5_bN5torch10headeronly6detail27GenericPackedTensorAccessorINS8_14TensorAccessorINS3_8ArrayRefIlEEKT_Lm3ENS7_16DefaultPtrTraitsElEENS_6detail16IndexBoundsCheckILm4ElEESE_Lm4ESF_lEENS9_INSA_ISC_SD_Lm3ESF_lEESJ_SD_Lm4ESF_lEE
    .private_segment_fixed_size: 0
    .sgpr_count:     40
    .sgpr_spill_count: 0
    .symbol:         _ZN2at6native12_GLOBAL__N_137upsample_bicubic2d_out_frame_parallelIN3c108BFloat16EfEEviT0_S5_bN5torch10headeronly6detail27GenericPackedTensorAccessorINS8_14TensorAccessorINS3_8ArrayRefIlEEKT_Lm3ENS7_16DefaultPtrTraitsElEENS_6detail16IndexBoundsCheckILm4ElEESE_Lm4ESF_lEENS9_INSA_ISC_SD_Lm3ESF_lEESJ_SD_Lm4ESF_lEE.kd
    .uniform_work_group_size: 1
    .uses_dynamic_stack: false
    .vgpr_count:     67
    .vgpr_spill_count: 0
    .wavefront_size: 32
  - .args:
      - .offset:         0
        .size:           4
        .value_kind:     by_value
      - .offset:         4
        .size:           4
        .value_kind:     by_value
      - .offset:         8
        .size:           4
        .value_kind:     by_value
      - .offset:         12
        .size:           1
        .value_kind:     by_value
      - .offset:         16
        .size:           72
        .value_kind:     by_value
      - .offset:         88
        .size:           72
        .value_kind:     by_value
      - .offset:         160
        .size:           4
        .value_kind:     hidden_block_count_x
      - .offset:         164
        .size:           4
        .value_kind:     hidden_block_count_y
      - .offset:         168
        .size:           4
        .value_kind:     hidden_block_count_z
      - .offset:         172
        .size:           2
        .value_kind:     hidden_group_size_x
      - .offset:         174
        .size:           2
        .value_kind:     hidden_group_size_y
      - .offset:         176
        .size:           2
        .value_kind:     hidden_group_size_z
      - .offset:         178
        .size:           2
        .value_kind:     hidden_remainder_x
      - .offset:         180
        .size:           2
        .value_kind:     hidden_remainder_y
      - .offset:         182
        .size:           2
        .value_kind:     hidden_remainder_z
      - .offset:         200
        .size:           8
        .value_kind:     hidden_global_offset_x
      - .offset:         208
        .size:           8
        .value_kind:     hidden_global_offset_y
      - .offset:         216
        .size:           8
        .value_kind:     hidden_global_offset_z
      - .offset:         224
        .size:           2
        .value_kind:     hidden_grid_dims
    .group_segment_fixed_size: 0
    .kernarg_segment_align: 8
    .kernarg_segment_size: 416
    .language:       OpenCL C
    .language_version:
      - 2
      - 0
    .max_flat_workgroup_size: 1024
    .name:           _ZN2at6native12_GLOBAL__N_128upsample_bicubic2d_out_frameIN3c108BFloat16EfEEviT0_S5_bN5torch10headeronly6detail27GenericPackedTensorAccessorINS8_14TensorAccessorINS3_8ArrayRefIlEEKT_Lm3ENS7_16DefaultPtrTraitsElEENS_6detail16IndexBoundsCheckILm4ElEESE_Lm4ESF_lEENS9_INSA_ISC_SD_Lm3ESF_lEESJ_SD_Lm4ESF_lEE
    .private_segment_fixed_size: 0
    .sgpr_count:     33
    .sgpr_spill_count: 0
    .symbol:         _ZN2at6native12_GLOBAL__N_128upsample_bicubic2d_out_frameIN3c108BFloat16EfEEviT0_S5_bN5torch10headeronly6detail27GenericPackedTensorAccessorINS8_14TensorAccessorINS3_8ArrayRefIlEEKT_Lm3ENS7_16DefaultPtrTraitsElEENS_6detail16IndexBoundsCheckILm4ElEESE_Lm4ESF_lEENS9_INSA_ISC_SD_Lm3ESF_lEESJ_SD_Lm4ESF_lEE.kd
    .uniform_work_group_size: 1
    .uses_dynamic_stack: false
    .vgpr_count:     69
    .vgpr_spill_count: 0
    .wavefront_size: 32
  - .args:
      - .offset:         0
        .size:           4
        .value_kind:     by_value
      - .offset:         8
        .size:           8
        .value_kind:     by_value
      - .offset:         16
        .size:           8
        .value_kind:     by_value
      - .offset:         24
        .size:           1
        .value_kind:     by_value
      - .offset:         32
        .size:           72
        .value_kind:     by_value
      - .offset:         104
        .size:           72
        .value_kind:     by_value
      - .offset:         176
        .size:           4
        .value_kind:     hidden_block_count_x
      - .offset:         180
        .size:           4
        .value_kind:     hidden_block_count_y
      - .offset:         184
        .size:           4
        .value_kind:     hidden_block_count_z
      - .offset:         188
        .size:           2
        .value_kind:     hidden_group_size_x
      - .offset:         190
        .size:           2
        .value_kind:     hidden_group_size_y
      - .offset:         192
        .size:           2
        .value_kind:     hidden_group_size_z
      - .offset:         194
        .size:           2
        .value_kind:     hidden_remainder_x
      - .offset:         196
        .size:           2
        .value_kind:     hidden_remainder_y
      - .offset:         198
        .size:           2
        .value_kind:     hidden_remainder_z
      - .offset:         216
        .size:           8
        .value_kind:     hidden_global_offset_x
      - .offset:         224
        .size:           8
        .value_kind:     hidden_global_offset_y
      - .offset:         232
        .size:           8
        .value_kind:     hidden_global_offset_z
      - .offset:         240
        .size:           2
        .value_kind:     hidden_grid_dims
    .group_segment_fixed_size: 0
    .kernarg_segment_align: 8
    .kernarg_segment_size: 432
    .language:       OpenCL C
    .language_version:
      - 2
      - 0
    .max_flat_workgroup_size: 1024
    .name:           _ZN2at6native12_GLOBAL__N_137upsample_bicubic2d_backward_out_frameIddEEviT0_S3_bN5torch10headeronly6detail27GenericPackedTensorAccessorINS6_14TensorAccessorIN3c108ArrayRefIlEET_Lm3ENS5_16DefaultPtrTraitsElEENS_6detail16IndexBoundsCheckILm4ElEESC_Lm4ESD_lEENS7_INS8_ISB_KSC_Lm3ESD_lEESH_SJ_Lm4ESD_lEE
    .private_segment_fixed_size: 0
    .sgpr_count:     30
    .sgpr_spill_count: 0
    .symbol:         _ZN2at6native12_GLOBAL__N_137upsample_bicubic2d_backward_out_frameIddEEviT0_S3_bN5torch10headeronly6detail27GenericPackedTensorAccessorINS6_14TensorAccessorIN3c108ArrayRefIlEET_Lm3ENS5_16DefaultPtrTraitsElEENS_6detail16IndexBoundsCheckILm4ElEESC_Lm4ESD_lEENS7_INS8_ISB_KSC_Lm3ESD_lEESH_SJ_Lm4ESD_lEE.kd
    .uniform_work_group_size: 1
    .uses_dynamic_stack: false
    .vgpr_count:     66
    .vgpr_spill_count: 0
    .wavefront_size: 32
  - .args:
      - .offset:         0
        .size:           4
        .value_kind:     by_value
      - .offset:         4
        .size:           4
        .value_kind:     by_value
      - .offset:         8
        .size:           4
        .value_kind:     by_value
      - .offset:         12
        .size:           1
        .value_kind:     by_value
      - .offset:         16
        .size:           72
        .value_kind:     by_value
      - .offset:         88
        .size:           72
        .value_kind:     by_value
      - .offset:         160
        .size:           4
        .value_kind:     hidden_block_count_x
      - .offset:         164
        .size:           4
        .value_kind:     hidden_block_count_y
      - .offset:         168
        .size:           4
        .value_kind:     hidden_block_count_z
      - .offset:         172
        .size:           2
        .value_kind:     hidden_group_size_x
      - .offset:         174
        .size:           2
        .value_kind:     hidden_group_size_y
      - .offset:         176
        .size:           2
        .value_kind:     hidden_group_size_z
      - .offset:         178
        .size:           2
        .value_kind:     hidden_remainder_x
      - .offset:         180
        .size:           2
        .value_kind:     hidden_remainder_y
      - .offset:         182
        .size:           2
        .value_kind:     hidden_remainder_z
      - .offset:         200
        .size:           8
        .value_kind:     hidden_global_offset_x
      - .offset:         208
        .size:           8
        .value_kind:     hidden_global_offset_y
      - .offset:         216
        .size:           8
        .value_kind:     hidden_global_offset_z
      - .offset:         224
        .size:           2
        .value_kind:     hidden_grid_dims
    .group_segment_fixed_size: 0
    .kernarg_segment_align: 8
    .kernarg_segment_size: 416
    .language:       OpenCL C
    .language_version:
      - 2
      - 0
    .max_flat_workgroup_size: 1024
    .name:           _ZN2at6native12_GLOBAL__N_137upsample_bicubic2d_backward_out_frameIffEEviT0_S3_bN5torch10headeronly6detail27GenericPackedTensorAccessorINS6_14TensorAccessorIN3c108ArrayRefIlEET_Lm3ENS5_16DefaultPtrTraitsElEENS_6detail16IndexBoundsCheckILm4ElEESC_Lm4ESD_lEENS7_INS8_ISB_KSC_Lm3ESD_lEESH_SJ_Lm4ESD_lEE
    .private_segment_fixed_size: 0
    .sgpr_count:     30
    .sgpr_spill_count: 0
    .symbol:         _ZN2at6native12_GLOBAL__N_137upsample_bicubic2d_backward_out_frameIffEEviT0_S3_bN5torch10headeronly6detail27GenericPackedTensorAccessorINS6_14TensorAccessorIN3c108ArrayRefIlEET_Lm3ENS5_16DefaultPtrTraitsElEENS_6detail16IndexBoundsCheckILm4ElEESC_Lm4ESD_lEENS7_INS8_ISB_KSC_Lm3ESD_lEESH_SJ_Lm4ESD_lEE.kd
    .uniform_work_group_size: 1
    .uses_dynamic_stack: false
    .vgpr_count:     64
    .vgpr_spill_count: 0
    .wavefront_size: 32
  - .args:
      - .offset:         0
        .size:           4
        .value_kind:     by_value
      - .offset:         4
        .size:           4
        .value_kind:     by_value
      - .offset:         8
        .size:           4
        .value_kind:     by_value
      - .offset:         12
        .size:           1
        .value_kind:     by_value
      - .offset:         16
        .size:           72
        .value_kind:     by_value
      - .offset:         88
        .size:           72
        .value_kind:     by_value
      - .offset:         160
        .size:           4
        .value_kind:     hidden_block_count_x
      - .offset:         164
        .size:           4
        .value_kind:     hidden_block_count_y
      - .offset:         168
        .size:           4
        .value_kind:     hidden_block_count_z
      - .offset:         172
        .size:           2
        .value_kind:     hidden_group_size_x
      - .offset:         174
        .size:           2
        .value_kind:     hidden_group_size_y
      - .offset:         176
        .size:           2
        .value_kind:     hidden_group_size_z
      - .offset:         178
        .size:           2
        .value_kind:     hidden_remainder_x
      - .offset:         180
        .size:           2
        .value_kind:     hidden_remainder_y
      - .offset:         182
        .size:           2
        .value_kind:     hidden_remainder_z
      - .offset:         200
        .size:           8
        .value_kind:     hidden_global_offset_x
      - .offset:         208
        .size:           8
        .value_kind:     hidden_global_offset_y
      - .offset:         216
        .size:           8
        .value_kind:     hidden_global_offset_z
      - .offset:         224
        .size:           2
        .value_kind:     hidden_grid_dims
    .group_segment_fixed_size: 0
    .kernarg_segment_align: 8
    .kernarg_segment_size: 416
    .language:       OpenCL C
    .language_version:
      - 2
      - 0
    .max_flat_workgroup_size: 1024
    .name:           _ZN2at6native12_GLOBAL__N_137upsample_bicubic2d_backward_out_frameIN3c104HalfEfEEviT0_S5_bN5torch10headeronly6detail27GenericPackedTensorAccessorINS8_14TensorAccessorINS3_8ArrayRefIlEET_Lm3ENS7_16DefaultPtrTraitsElEENS_6detail16IndexBoundsCheckILm4ElEESD_Lm4ESE_lEENS9_INSA_ISC_KSD_Lm3ESE_lEESI_SK_Lm4ESE_lEE
    .private_segment_fixed_size: 0
    .sgpr_count:     34
    .sgpr_spill_count: 0
    .symbol:         _ZN2at6native12_GLOBAL__N_137upsample_bicubic2d_backward_out_frameIN3c104HalfEfEEviT0_S5_bN5torch10headeronly6detail27GenericPackedTensorAccessorINS8_14TensorAccessorINS3_8ArrayRefIlEET_Lm3ENS7_16DefaultPtrTraitsElEENS_6detail16IndexBoundsCheckILm4ElEESD_Lm4ESE_lEENS9_INSA_ISC_KSD_Lm3ESE_lEESI_SK_Lm4ESE_lEE.kd
    .uniform_work_group_size: 1
    .uses_dynamic_stack: false
    .vgpr_count:     36
    .vgpr_spill_count: 0
    .wavefront_size: 32
  - .args:
      - .offset:         0
        .size:           4
        .value_kind:     by_value
      - .offset:         4
        .size:           4
        .value_kind:     by_value
      - .offset:         8
        .size:           4
        .value_kind:     by_value
      - .offset:         12
        .size:           1
        .value_kind:     by_value
      - .offset:         16
        .size:           72
        .value_kind:     by_value
      - .offset:         88
        .size:           72
        .value_kind:     by_value
      - .offset:         160
        .size:           4
        .value_kind:     hidden_block_count_x
      - .offset:         164
        .size:           4
        .value_kind:     hidden_block_count_y
      - .offset:         168
        .size:           4
        .value_kind:     hidden_block_count_z
      - .offset:         172
        .size:           2
        .value_kind:     hidden_group_size_x
      - .offset:         174
        .size:           2
        .value_kind:     hidden_group_size_y
      - .offset:         176
        .size:           2
        .value_kind:     hidden_group_size_z
      - .offset:         178
        .size:           2
        .value_kind:     hidden_remainder_x
      - .offset:         180
        .size:           2
        .value_kind:     hidden_remainder_y
      - .offset:         182
        .size:           2
        .value_kind:     hidden_remainder_z
      - .offset:         200
        .size:           8
        .value_kind:     hidden_global_offset_x
      - .offset:         208
        .size:           8
        .value_kind:     hidden_global_offset_y
      - .offset:         216
        .size:           8
        .value_kind:     hidden_global_offset_z
      - .offset:         224
        .size:           2
        .value_kind:     hidden_grid_dims
    .group_segment_fixed_size: 0
    .kernarg_segment_align: 8
    .kernarg_segment_size: 416
    .language:       OpenCL C
    .language_version:
      - 2
      - 0
    .max_flat_workgroup_size: 1024
    .name:           _ZN2at6native12_GLOBAL__N_137upsample_bicubic2d_backward_out_frameIN3c108BFloat16EfEEviT0_S5_bN5torch10headeronly6detail27GenericPackedTensorAccessorINS8_14TensorAccessorINS3_8ArrayRefIlEET_Lm3ENS7_16DefaultPtrTraitsElEENS_6detail16IndexBoundsCheckILm4ElEESD_Lm4ESE_lEENS9_INSA_ISC_KSD_Lm3ESE_lEESI_SK_Lm4ESE_lEE
    .private_segment_fixed_size: 0
    .sgpr_count:     34
    .sgpr_spill_count: 0
    .symbol:         _ZN2at6native12_GLOBAL__N_137upsample_bicubic2d_backward_out_frameIN3c108BFloat16EfEEviT0_S5_bN5torch10headeronly6detail27GenericPackedTensorAccessorINS8_14TensorAccessorINS3_8ArrayRefIlEET_Lm3ENS7_16DefaultPtrTraitsElEENS_6detail16IndexBoundsCheckILm4ElEESD_Lm4ESE_lEENS9_INSA_ISC_KSD_Lm3ESE_lEESI_SK_Lm4ESE_lEE.kd
    .uniform_work_group_size: 1
    .uses_dynamic_stack: false
    .vgpr_count:     36
    .vgpr_spill_count: 0
    .wavefront_size: 32
amdhsa.target:   amdgcn-amd-amdhsa--gfx1250
amdhsa.version:
  - 1
  - 2
...

	.end_amdgpu_metadata
